;; amdgpu-corpus repo=ggml-org/llama.cpp kind=compiled arch=gfx906 opt=O3
	.amdgcn_target "amdgcn-amd-amdhsa--gfx906"
	.amdhsa_code_object_version 6
	.section	.text._ZL15flash_attn_tileILi192ELi128ELi2ELi16ELb0EEvPKcS1_S1_S1_S1_PKiPfP15HIP_vector_typeIfLj2EEffffjfiS5_IjLj3EEiiiiiiiiiiiliiliiiiil,"axG",@progbits,_ZL15flash_attn_tileILi192ELi128ELi2ELi16ELb0EEvPKcS1_S1_S1_S1_PKiPfP15HIP_vector_typeIfLj2EEffffjfiS5_IjLj3EEiiiiiiiiiiiliiliiiiil,comdat
	.globl	_ZL15flash_attn_tileILi192ELi128ELi2ELi16ELb0EEvPKcS1_S1_S1_S1_PKiPfP15HIP_vector_typeIfLj2EEffffjfiS5_IjLj3EEiiiiiiiiiiiliiliiiiil ; -- Begin function _ZL15flash_attn_tileILi192ELi128ELi2ELi16ELb0EEvPKcS1_S1_S1_S1_PKiPfP15HIP_vector_typeIfLj2EEffffjfiS5_IjLj3EEiiiiiiiiiiiliiliiiiil
	.p2align	8
	.type	_ZL15flash_attn_tileILi192ELi128ELi2ELi16ELb0EEvPKcS1_S1_S1_S1_PKiPfP15HIP_vector_typeIfLj2EEffffjfiS5_IjLj3EEiiiiiiiiiiiliiliiiiil,@function
_ZL15flash_attn_tileILi192ELi128ELi2ELi16ELb0EEvPKcS1_S1_S1_S1_PKiPfP15HIP_vector_typeIfLj2EEffffjfiS5_IjLj3EEiiiiiiiiiiiliiliiiiil: ; @_ZL15flash_attn_tileILi192ELi128ELi2ELi16ELb0EEvPKcS1_S1_S1_S1_PKiPfP15HIP_vector_typeIfLj2EEffffjfiS5_IjLj3EEiiiiiiiiiiiliiliiiiil
; %bb.0:
	s_load_dwordx4 s[0:3], s[4:5], 0x5c
	s_load_dwordx2 s[24:25], s[4:5], 0x80
	s_load_dwordx2 s[28:29], s[4:5], 0xb8
	s_mov_b64 s[26:27], 0
	s_waitcnt lgkmcnt(0)
	s_ashr_i32 s9, s3, 31
	s_lshr_b32 s9, s9, 28
	s_add_i32 s9, s3, s9
	s_ashr_i32 s9, s9, 4
	v_cvt_f32_u32_e32 v2, s9
	s_sub_i32 s10, 0, s9
	v_rcp_iflag_f32_e32 v2, v2
	v_mul_f32_e32 v2, 0x4f7ffffe, v2
	v_cvt_u32_f32_e32 v2, v2
	v_readfirstlane_b32 s11, v2
	s_mul_i32 s10, s10, s11
	s_mul_hi_u32 s10, s11, s10
	s_add_i32 s11, s11, s10
	s_mul_hi_u32 s10, s8, s11
	s_mul_i32 s11, s10, s9
	s_sub_i32 s11, s8, s11
	s_add_i32 s12, s10, 1
	s_sub_i32 s13, s11, s9
	s_cmp_ge_u32 s11, s9
	s_cselect_b32 s10, s12, s10
	s_cselect_b32 s11, s13, s11
	s_add_i32 s12, s10, 1
	s_cmp_ge_u32 s11, s9
	s_cselect_b32 s30, s12, s10
	s_abs_i32 s9, s25
	v_cvt_f32_u32_e32 v2, s9
	s_lshl_b32 s8, s8, 4
	s_mul_i32 s12, s30, s3
	s_xor_b32 s10, s3, s25
	v_rcp_iflag_f32_e32 v2, v2
	s_sub_i32 s13, 0, s9
	s_sub_i32 s25, s8, s12
	s_abs_i32 s11, s3
	v_mul_f32_e32 v2, 0x4f7ffffe, v2
	v_cvt_u32_f32_e32 v2, v2
	s_ashr_i32 s10, s10, 31
	v_readfirstlane_b32 s8, v2
	s_mul_i32 s13, s13, s8
	s_mul_hi_u32 s12, s8, s13
	s_add_i32 s8, s8, s12
	s_mul_hi_u32 s8, s11, s8
	s_mul_i32 s12, s8, s9
	s_sub_i32 s11, s11, s12
	s_add_i32 s13, s8, 1
	s_sub_i32 s12, s11, s9
	s_cmp_ge_u32 s11, s9
	s_cselect_b32 s8, s13, s8
	s_cselect_b32 s11, s12, s11
	s_add_i32 s12, s8, 1
	s_cmp_ge_u32 s11, s9
	s_cselect_b32 s8, s12, s8
	s_xor_b32 s8, s8, s10
	s_sub_i32 s33, s8, s10
	s_abs_i32 s31, s33
	v_cvt_f32_u32_e32 v2, s31
	s_load_dwordx16 s[8:23], s[4:5], 0x0
	v_rcp_iflag_f32_e32 v2, v2
	s_waitcnt lgkmcnt(0)
	s_cmp_eq_u64 s[14:15], 0
	v_mul_f32_e32 v2, 0x4f7ffffe, v2
	v_cvt_u32_f32_e32 v2, v2
	v_readfirstlane_b32 s34, v2
	s_cbranch_scc1 .LBB0_2
; %bb.1:
	s_abs_i32 s28, s28
	v_cvt_f32_u32_e32 v2, s28
	s_sub_i32 s37, 0, s28
	s_abs_i32 s36, s30
	s_ashr_i32 s35, s30, 31
	v_rcp_iflag_f32_e32 v2, v2
	s_load_dwordx2 s[26:27], s[4:5], 0xc8
	v_mul_f32_e32 v2, 0x4f7ffffe, v2
	v_cvt_u32_f32_e32 v2, v2
	v_readfirstlane_b32 s38, v2
	s_mul_i32 s37, s37, s38
	s_mul_hi_u32 s37, s38, s37
	s_add_i32 s38, s38, s37
	s_mul_hi_u32 s37, s36, s38
	s_mul_i32 s37, s37, s28
	s_sub_i32 s36, s36, s37
	s_sub_i32 s37, s36, s28
	s_cmp_ge_u32 s36, s28
	s_cselect_b32 s36, s37, s36
	s_sub_i32 s37, s36, s28
	s_cmp_ge_u32 s36, s28
	s_cselect_b32 s28, s37, s36
	s_xor_b32 s28, s28, s35
	s_sub_i32 s28, s28, s35
	s_ashr_i32 s35, s28, 31
	s_waitcnt lgkmcnt(0)
	s_mul_hi_u32 s36, s26, s28
	s_mul_i32 s35, s26, s35
	s_mul_i32 s27, s27, s28
	s_add_i32 s35, s36, s35
	s_add_i32 s35, s35, s27
	s_mul_i32 s26, s26, s28
	s_add_u32 s26, s14, s26
	s_addc_u32 s27, s15, s35
.LBB0_2:
	v_lshrrev_b32_e32 v2, 2, v1
	s_load_dwordx4 s[36:39], s[4:5], 0x70
	v_lshl_add_u32 v13, s6, 1, v2
	v_mul_hi_u32 v2, s0, v13
	v_lshlrev_b32_e32 v6, 2, v1
	v_and_b32_e32 v14, 12, v6
	s_waitcnt lgkmcnt(0)
	s_mul_i32 s0, s30, s38
	v_add_u32_e32 v2, v13, v2
	s_ashr_i32 s15, s0, 31
	v_lshrrev_b32_e32 v2, s1, v2
	s_mul_i32 s14, s25, s37
	s_add_u32 s0, s8, s0
	v_mul_lo_u32 v2, v2, s2
	s_addc_u32 s8, s9, s15
	s_ashr_i32 s9, s14, 31
	s_add_u32 s14, s0, s14
	s_addc_u32 s15, s8, s9
	s_ashr_i32 s1, s37, 31
	s_mov_b32 s0, s37
	s_ashr_i32 s37, s36, 31
	v_sub_u32_e32 v5, v13, v2
	s_lshr_b64 s[8:9], s[36:37], 2
	v_mad_u64_u32 v[2:3], s[8:9], s8, v5, 0
	s_lshr_b32 s8, s37, 2
	v_lshlrev_b32_e32 v8, 4, v0
	v_mad_u64_u32 v[3:4], s[8:9], s8, v5, v[3:4]
	s_lshr_b64 s[8:9], s[0:1], 2
	v_mov_b32_e32 v4, s15
	v_lshlrev_b64 v[2:3], 2, v[2:3]
	s_movk_i32 s0, 0x600
	v_add_co_u32_e32 v7, vcc, s14, v2
	v_addc_co_u32_e32 v4, vcc, v4, v3, vcc
	v_mad_u64_u32 v[2:3], s[14:15], s8, v14, 0
	v_add_co_u32_e32 v7, vcc, v7, v8
	v_mad_i32_i24 v3, s1, v14, v3
	v_lshlrev_b64 v[2:3], 2, v[2:3]
	v_addc_co_u32_e32 v9, vcc, 0, v4, vcc
	v_add_co_u32_e32 v2, vcc, v7, v2
	v_addc_co_u32_e32 v3, vcc, v9, v3, vcc
	global_load_dwordx4 v[15:18], v[2:3], off
	s_load_dword s14, s[4:5], 0x40
	v_lshlrev_b32_e32 v4, 3, v0
	v_mul_u32_u24_e32 v8, 0x600, v1
	v_mad_u32_u24 v12, v1, s0, v4
	v_cmp_gt_u32_e32 vcc, 16, v0
	s_waitcnt vmcnt(0) lgkmcnt(0)
	v_fma_mixlo_f16 v10, s14, v15, 0
	v_fma_mixlo_f16 v11, s14, v16, 0
	;; [unrolled: 1-line block ×4, first 2 shown]
	v_lshlrev_b32_e32 v11, 16, v11
	v_and_b32_e32 v10, 0xffff, v10
	v_lshlrev_b32_e32 v16, 16, v16
	v_and_b32_e32 v15, 0xffff, v15
	v_or_b32_e32 v10, v11, v10
	v_or3_b32 v11, v16, v15, 0
	v_or3_b32 v10, 0, 0, v10
	ds_write_b64 v12, v[10:11]
	s_and_saveexec_b64 s[0:1], vcc
	s_cbranch_execz .LBB0_4
; %bb.3:
	global_load_dwordx4 v[15:18], v[2:3], off offset:512
	s_waitcnt vmcnt(0)
	v_fma_mixlo_f16 v2, s14, v15, 0
	v_fma_mixlo_f16 v3, s14, v16, 0
	;; [unrolled: 1-line block ×4, first 2 shown]
	v_lshlrev_b32_e32 v3, 16, v3
	v_and_b32_e32 v2, 0xffff, v2
	v_lshlrev_b32_e32 v11, 16, v11
	v_and_b32_e32 v10, 0xffff, v10
	v_or_b32_e32 v2, v3, v2
	v_or3_b32 v3, v11, v10, 0
	v_or3_b32 v2, 0, 0, v2
	v_add_u32_e32 v10, v4, v8
	ds_write_b64 v10, v[2:3] offset:256
.LBB0_4:
	s_or_b64 exec, exec, s[0:1]
	v_or_b32_e32 v12, 1, v6
	v_and_b32_e32 v10, 13, v12
	v_mad_u64_u32 v[2:3], s[0:1], s8, v10, 0
	v_mul_u32_u24_e32 v19, 0x180, v12
	v_mad_u64_u32 v[10:11], s[0:1], s9, v10, v[3:4]
	v_mov_b32_e32 v3, v10
	v_lshlrev_b64 v[2:3], 2, v[2:3]
	v_add_co_u32_e64 v2, s[0:1], v7, v2
	v_addc_co_u32_e64 v3, s[0:1], v9, v3, s[0:1]
	global_load_dwordx4 v[15:18], v[2:3], off
	s_movk_i32 s0, 0x180
	v_mad_u32_u24 v12, v12, s0, v4
	s_waitcnt vmcnt(0)
	v_fma_mixlo_f16 v10, s14, v15, 0
	v_fma_mixlo_f16 v11, s14, v16, 0
	;; [unrolled: 1-line block ×4, first 2 shown]
	v_lshlrev_b32_e32 v11, 16, v11
	v_and_b32_e32 v10, 0xffff, v10
	v_lshlrev_b32_e32 v16, 16, v16
	v_and_b32_e32 v15, 0xffff, v15
	v_or_b32_e32 v10, v11, v10
	v_or3_b32 v11, v16, v15, 0
	v_or3_b32 v10, 0, 0, v10
	ds_write_b64 v12, v[10:11]
	v_add_u32_e32 v10, v4, v19
	s_and_saveexec_b64 s[0:1], vcc
	s_cbranch_execz .LBB0_6
; %bb.5:
	global_load_dwordx4 v[15:18], v[2:3], off offset:512
	s_waitcnt vmcnt(0)
	v_fma_mixlo_f16 v2, s14, v15, 0
	v_fma_mixlo_f16 v3, s14, v16, 0
	;; [unrolled: 1-line block ×4, first 2 shown]
	v_lshlrev_b32_e32 v3, 16, v3
	v_and_b32_e32 v2, 0xffff, v2
	v_lshlrev_b32_e32 v12, 16, v12
	v_and_b32_e32 v11, 0xffff, v11
	v_or_b32_e32 v2, v3, v2
	v_or3_b32 v3, v12, v11, 0
	v_or3_b32 v2, 0, 0, v2
	ds_write_b64 v10, v[2:3] offset:256
.LBB0_6:
	s_or_b64 exec, exec, s[0:1]
	v_or_b32_e32 v2, 2, v6
	v_and_b32_e32 v11, 14, v2
	v_mad_u64_u32 v[2:3], s[0:1], s8, v11, 0
	v_mad_u64_u32 v[11:12], s[0:1], s9, v11, v[3:4]
	v_mov_b32_e32 v3, v11
	v_lshlrev_b64 v[2:3], 2, v[2:3]
	v_add_co_u32_e64 v2, s[0:1], v7, v2
	v_addc_co_u32_e64 v3, s[0:1], v9, v3, s[0:1]
	global_load_dwordx4 v[15:18], v[2:3], off
	s_waitcnt vmcnt(0)
	v_fma_mixlo_f16 v11, s14, v15, 0
	v_fma_mixlo_f16 v12, s14, v16, 0
	;; [unrolled: 1-line block ×4, first 2 shown]
	v_lshlrev_b32_e32 v12, 16, v12
	v_and_b32_e32 v11, 0xffff, v11
	v_lshlrev_b32_e32 v16, 16, v16
	v_and_b32_e32 v15, 0xffff, v15
	v_or_b32_e32 v11, v12, v11
	v_or3_b32 v12, v16, v15, 0
	v_or3_b32 v11, 0, 0, v11
	ds_write_b64 v10, v[11:12] offset:384
	s_and_saveexec_b64 s[0:1], vcc
	s_cbranch_execz .LBB0_8
; %bb.7:
	global_load_dwordx4 v[15:18], v[2:3], off offset:512
	s_waitcnt vmcnt(0)
	v_fma_mixlo_f16 v2, s14, v15, 0
	v_fma_mixlo_f16 v3, s14, v16, 0
	;; [unrolled: 1-line block ×4, first 2 shown]
	v_lshlrev_b32_e32 v3, 16, v3
	v_and_b32_e32 v2, 0xffff, v2
	v_lshlrev_b32_e32 v12, 16, v12
	v_and_b32_e32 v11, 0xffff, v11
	v_or_b32_e32 v2, v3, v2
	v_or3_b32 v3, v12, v11, 0
	v_or3_b32 v2, 0, 0, v2
	ds_write_b64 v10, v[2:3] offset:640
.LBB0_8:
	s_or_b64 exec, exec, s[0:1]
	v_or_b32_e32 v2, 3, v6
	v_and_b32_e32 v11, 15, v2
	v_mad_u64_u32 v[2:3], s[0:1], s8, v11, 0
	v_mad_u64_u32 v[11:12], s[0:1], s9, v11, v[3:4]
	v_mov_b32_e32 v3, v11
	v_lshlrev_b64 v[2:3], 2, v[2:3]
	v_add_co_u32_e64 v2, s[0:1], v7, v2
	v_addc_co_u32_e64 v3, s[0:1], v9, v3, s[0:1]
	global_load_dwordx4 v[15:18], v[2:3], off
	s_waitcnt vmcnt(0)
	v_fma_mixlo_f16 v7, s14, v15, 0
	v_fma_mixlo_f16 v9, s14, v16, 0
	v_fma_mixlo_f16 v11, s14, v17, 0
	v_fma_mixlo_f16 v12, s14, v18, 0
	v_lshlrev_b32_e32 v9, 16, v9
	v_and_b32_e32 v7, 0xffff, v7
	v_lshlrev_b32_e32 v12, 16, v12
	v_and_b32_e32 v11, 0xffff, v11
	v_or_b32_e32 v7, v9, v7
	v_or3_b32 v12, v12, v11, 0
	v_or3_b32 v11, 0, 0, v7
	ds_write_b64 v10, v[11:12] offset:768
	s_and_saveexec_b64 s[0:1], vcc
	s_cbranch_execz .LBB0_10
; %bb.9:
	global_load_dwordx4 v[15:18], v[2:3], off offset:512
	s_waitcnt vmcnt(0)
	v_fma_mixlo_f16 v2, s14, v15, 0
	v_fma_mixlo_f16 v3, s14, v16, 0
	;; [unrolled: 1-line block ×4, first 2 shown]
	v_lshlrev_b32_e32 v3, 16, v3
	v_and_b32_e32 v2, 0xffff, v2
	v_lshlrev_b32_e32 v9, 16, v9
	v_and_b32_e32 v7, 0xffff, v7
	v_or_b32_e32 v2, v3, v2
	v_or3_b32 v3, v9, v7, 0
	v_or3_b32 v2, 0, 0, v2
	ds_write_b64 v10, v[2:3] offset:1024
.LBB0_10:
	s_or_b64 exec, exec, s[0:1]
	s_cmp_eq_u64 s[18:19], 0
	s_waitcnt lgkmcnt(0)
	s_barrier
	s_cbranch_scc1 .LBB0_12
; %bb.11:
	s_load_dword s0, s[4:5], 0xd0
	s_mov_b32 s1, 0
	s_waitcnt lgkmcnt(0)
	s_mul_i32 s0, s0, s30
	s_add_i32 s0, s0, s6
	s_lshl_b64 s[0:1], s[0:1], 2
	s_add_u32 s0, s18, s0
	s_addc_u32 s1, s19, s1
	s_load_dword s24, s[0:1], 0x0
.LBB0_12:
	s_lshl_b32 s6, s7, 5
	s_waitcnt lgkmcnt(0)
	s_cmp_lt_i32 s6, s24
	v_mbcnt_lo_u32_b32 v2, -1, 0
	s_cbranch_scc1 .LBB0_15
; %bb.13:
	v_mbcnt_hi_u32_b32 v9, -1, v2
	v_and_b32_e32 v3, 0x60, v9
	v_add_u32_e32 v10, 32, v3
	v_xor_b32_e32 v18, 16, v9
	v_xor_b32_e32 v17, 8, v9
	;; [unrolled: 1-line block ×5, first 2 shown]
	v_lshlrev_b32_e32 v15, 2, v0
	s_cbranch_execz .LBB0_16
; %bb.14:
	v_mov_b32_e32 v35, 0
	v_mov_b32_e32 v19, 0
	;; [unrolled: 1-line block ×16, first 2 shown]
	s_branch .LBB0_18
.LBB0_15:
                                        ; implicit-def: $vgpr9
                                        ; implicit-def: $vgpr10
                                        ; implicit-def: $vgpr18
                                        ; implicit-def: $vgpr17
                                        ; implicit-def: $vgpr16
                                        ; implicit-def: $vgpr11
                                        ; implicit-def: $vgpr12
	v_lshlrev_b32_e32 v15, 2, v0
.LBB0_16:
	s_sub_i32 s0, 0, s31
	s_mul_i32 s0, s0, s34
	s_mul_hi_u32 s0, s34, s0
	s_add_i32 s34, s34, s0
	s_load_dwordx2 s[0:1], s[4:5], 0x8c
	s_load_dwordx4 s[36:39], s[4:5], 0x98
	s_abs_i32 s18, s25
	s_mul_hi_u32 s19, s18, s34
	s_ashr_i32 s28, s25, 31
	s_waitcnt lgkmcnt(0)
	s_ashr_i32 s9, s0, 2
	s_ashr_i32 s0, s30, 31
	s_mul_hi_u32 s34, s36, s30
	s_mul_i32 s35, s36, s0
	s_add_i32 s34, s34, s35
	s_mul_i32 s35, s37, s30
	s_ashr_i32 s33, s33, 31
	s_ashr_i32 s8, s38, 2
	;; [unrolled: 1-line block ×3, first 2 shown]
	s_add_i32 s34, s34, s35
	s_mul_i32 s35, s36, s30
	s_add_u32 s10, s10, s35
	s_addc_u32 s11, s11, s34
	s_xor_b32 s28, s28, s33
	s_mul_i32 s33, s19, s31
	s_sub_i32 s18, s18, s33
	s_add_i32 s33, s19, 1
	s_sub_i32 s34, s18, s31
	s_cmp_ge_u32 s18, s31
	s_cselect_b32 s19, s33, s19
	s_cselect_b32 s18, s34, s18
	s_add_i32 s33, s19, 1
	s_cmp_ge_u32 s18, s31
	s_cselect_b32 s18, s33, s19
	s_load_dwordx2 s[14:15], s[4:5], 0xa8
	s_xor_b32 s18, s18, s28
	s_sub_i32 s18, s18, s28
	v_lshrrev_b32_e32 v3, 3, v0
	s_mul_i32 s1, s18, s1
	v_add_u32_e32 v3, v3, v6
	s_ashr_i32 s19, s1, 31
	v_mul_lo_u32 v6, s9, v3
	s_add_u32 s1, s10, s1
	s_addc_u32 s10, s11, s19
	s_waitcnt lgkmcnt(0)
	s_mul_hi_u32 s11, s14, s30
	s_mul_i32 s0, s14, s0
	s_add_i32 s0, s11, s0
	s_mul_i32 s11, s15, s30
	v_and_b32_e32 v7, 28, v15
	s_add_i32 s0, s0, s11
	s_mul_i32 s11, s14, s30
	v_mul_u32_u24_e32 v9, 0x90, v3
	v_lshlrev_b32_e32 v3, 2, v7
	v_ashrrev_i32_e32 v7, 31, v6
	s_add_u32 s11, s12, s11
	v_lshlrev_b64 v[6:7], 2, v[6:7]
	s_addc_u32 s0, s13, s0
	s_mul_i32 s18, s18, s39
	s_movk_i32 s13, 0x3000
	s_ashr_i32 s12, s18, 31
	v_add3_u32 v20, v9, v3, s13
	v_mov_b32_e32 v9, s10
	v_add_co_u32_e32 v6, vcc, s1, v6
	s_add_u32 s11, s11, s18
	v_addc_co_u32_e32 v7, vcc, v9, v7, vcc
	s_addc_u32 s12, s0, s12
	s_movk_i32 s0, 0x90
	v_add_co_u32_e32 v21, vcc, v6, v3
	v_mov_b32_e32 v3, 0x3000
	v_mad_u32_u24 v23, v0, s0, v3
	v_mov_b32_e32 v3, 0x4200
	v_lshl_add_u32 v24, v1, 8, v3
	v_lshrrev_b32_e32 v3, 4, v0
	v_mad_u64_u32 v[5:6], s[0:1], v5, s29, v[0:1]
	v_lshl_add_u32 v1, v1, 1, v3
	v_mul_lo_u32 v6, s8, v1
	v_addc_co_u32_e32 v22, vcc, 0, v7, vcc
	v_and_b32_e32 v3, 60, v15
	v_ashrrev_i32_e32 v7, 31, v6
	v_lshlrev_b32_e32 v3, 2, v3
	v_lshlrev_b64 v[6:7], 2, v[6:7]
	v_lshl_or_b32 v1, v1, 8, v3
	v_add_u32_e32 v25, 0x3000, v1
	v_mov_b32_e32 v1, s12
	v_add_co_u32_e32 v6, vcc, s11, v6
	v_addc_co_u32_e32 v1, vcc, v1, v7, vcc
	v_mbcnt_hi_u32_b32 v9, -1, v2
	v_add_co_u32_e32 v26, vcc, v6, v3
	s_add_u32 s0, s4, 0xd0
	v_and_b32_e32 v2, 0x60, v9
	v_mov_b32_e32 v41, 0
	v_addc_co_u32_e32 v27, vcc, 0, v1, vcc
	s_addc_u32 s1, s5, 0
	v_mov_b32_e32 v1, 0xfeffffff
	v_mov_b32_e32 v36, 0
	;; [unrolled: 1-line block ×3, first 2 shown]
	v_add_u32_e32 v10, 32, v2
	v_xor_b32_e32 v18, 16, v9
	v_xor_b32_e32 v17, 8, v9
	v_xor_b32_e32 v16, 4, v9
	v_xor_b32_e32 v11, 2, v9
	v_xor_b32_e32 v12, 1, v9
	s_mov_b32 s10, 0x3fb8aa3b
	s_mov_b32 s11, 0xc2ce8ed0
	;; [unrolled: 1-line block ×3, first 2 shown]
	v_mov_b32_e32 v29, 0x7f800000
	s_mov_b32 s13, 0x10001
	v_add_u32_e32 v30, v24, v4
	v_add_u32_e32 v31, 0x3000, v4
	;; [unrolled: 1-line block ×3, first 2 shown]
	v_mov_b32_e32 v37, 0
	v_mov_b32_e32 v38, 0
	;; [unrolled: 1-line block ×13, first 2 shown]
.LBB0_17:                               ; =>This Inner Loop Header: Depth=1
	s_mul_hi_i32 s15, s6, s9
	s_mul_i32 s14, s6, s9
	s_lshl_b64 s[14:15], s[14:15], 2
	v_mov_b32_e32 v44, v42
	v_mov_b32_e32 v45, v41
	;; [unrolled: 1-line block ×4, first 2 shown]
	v_add_co_u32_e32 v1, vcc, s14, v21
	v_mov_b32_e32 v2, s15
	v_addc_co_u32_e32 v2, vcc, v22, v2, vcc
	global_load_dwordx4 v[46:49], v[1:2], off
	v_mov_b32_e32 v7, v43
	v_mov_b32_e32 v43, v3
	;; [unrolled: 1-line block ×5, first 2 shown]
	s_mul_hi_i32 s15, s6, s8
	s_mul_i32 s14, s6, s8
	s_lshl_b64 s[14:15], s[14:15], 2
	s_waitcnt vmcnt(0)
	ds_write_b128 v20, v[46:49]
	s_waitcnt lgkmcnt(0)
	s_barrier
	ds_read_b128 v[48:51], v23
	ds_read_b128 v[52:55], v8
	ds_read_b128 v[56:59], v8 offset:384
	ds_read_b128 v[60:63], v8 offset:768
	;; [unrolled: 1-line block ×3, first 2 shown]
	v_mov_b32_e32 v47, 0
	s_waitcnt lgkmcnt(3)
	;;#ASMSTART
	v_dot2_f32_f16 v47, v48, v52, v47
	;;#ASMEND
	;;#ASMSTART
	v_dot2_f32_f16 v47, v49, v53, v47
	;;#ASMEND
	;; [unrolled: 3-line block ×3, first 2 shown]
	v_mov_b32_e32 v46, 0
	;;#ASMSTART
	v_dot2_f32_f16 v47, v51, v55, v47
	;;#ASMEND
	s_waitcnt lgkmcnt(2)
	;;#ASMSTART
	v_dot2_f32_f16 v46, v48, v56, v46
	;;#ASMEND
	;;#ASMSTART
	v_dot2_f32_f16 v46, v49, v57, v46
	;;#ASMEND
	;;#ASMSTART
	v_dot2_f32_f16 v46, v50, v58, v46
	;;#ASMEND
	;;#ASMSTART
	v_dot2_f32_f16 v46, v51, v59, v46
	;;#ASMEND
	s_waitcnt lgkmcnt(1)
	;;#ASMSTART
	v_dot2_f32_f16 v3, v48, v60, v3
	;;#ASMEND
	;;#ASMSTART
	v_dot2_f32_f16 v3, v49, v61, v3
	;;#ASMEND
	;;#ASMSTART
	v_dot2_f32_f16 v3, v50, v62, v3
	;;#ASMEND
	;;#ASMSTART
	v_dot2_f32_f16 v3, v51, v63, v3
	;;#ASMEND
	s_waitcnt lgkmcnt(0)
	;;#ASMSTART
	v_dot2_f32_f16 v4, v48, v64, v4
	;;#ASMEND
	;;#ASMSTART
	v_dot2_f32_f16 v4, v49, v65, v4
	;;#ASMEND
	;;#ASMSTART
	v_dot2_f32_f16 v4, v50, v66, v4
	;;#ASMEND
	;;#ASMSTART
	v_dot2_f32_f16 v4, v51, v67, v4
	;;#ASMEND
	ds_read_b128 v[48:51], v23 offset:16
	ds_read_b128 v[52:55], v8 offset:16
	ds_read_b128 v[56:59], v8 offset:400
	ds_read_b128 v[60:63], v8 offset:784
	ds_read_b128 v[64:67], v8 offset:1168
	s_waitcnt lgkmcnt(3)
	;;#ASMSTART
	v_dot2_f32_f16 v47, v48, v52, v47
	;;#ASMEND
	;;#ASMSTART
	v_dot2_f32_f16 v47, v49, v53, v47
	;;#ASMEND
	;;#ASMSTART
	v_dot2_f32_f16 v47, v50, v54, v47
	;;#ASMEND
	;;#ASMSTART
	v_dot2_f32_f16 v47, v51, v55, v47
	;;#ASMEND
	s_waitcnt lgkmcnt(2)
	;;#ASMSTART
	v_dot2_f32_f16 v46, v48, v56, v46
	;;#ASMEND
	;;#ASMSTART
	v_dot2_f32_f16 v46, v49, v57, v46
	;;#ASMEND
	;;#ASMSTART
	v_dot2_f32_f16 v46, v50, v58, v46
	;;#ASMEND
	;;#ASMSTART
	v_dot2_f32_f16 v46, v51, v59, v46
	;;#ASMEND
	s_waitcnt lgkmcnt(1)
	;;#ASMSTART
	v_dot2_f32_f16 v3, v48, v60, v3
	;;#ASMEND
	;;#ASMSTART
	v_dot2_f32_f16 v3, v49, v61, v3
	;;#ASMEND
	;;#ASMSTART
	v_dot2_f32_f16 v3, v50, v62, v3
	;;#ASMEND
	;;#ASMSTART
	v_dot2_f32_f16 v3, v51, v63, v3
	;;#ASMEND
	s_waitcnt lgkmcnt(0)
	;;#ASMSTART
	v_dot2_f32_f16 v4, v48, v64, v4
	;;#ASMEND
	;;#ASMSTART
	v_dot2_f32_f16 v4, v49, v65, v4
	;;#ASMEND
	;;#ASMSTART
	v_dot2_f32_f16 v4, v50, v66, v4
	;;#ASMEND
	;;#ASMSTART
	v_dot2_f32_f16 v4, v51, v67, v4
	;;#ASMEND
	ds_read_b128 v[48:51], v23 offset:32
	ds_read_b128 v[52:55], v8 offset:32
	ds_read_b128 v[56:59], v8 offset:416
	ds_read_b128 v[60:63], v8 offset:800
	ds_read_b128 v[64:67], v8 offset:1184
	s_waitcnt lgkmcnt(3)
	;;#ASMSTART
	v_dot2_f32_f16 v47, v48, v52, v47
	;;#ASMEND
	;;#ASMSTART
	v_dot2_f32_f16 v47, v49, v53, v47
	;;#ASMEND
	;;#ASMSTART
	v_dot2_f32_f16 v47, v50, v54, v47
	;;#ASMEND
	;;#ASMSTART
	v_dot2_f32_f16 v47, v51, v55, v47
	;;#ASMEND
	s_waitcnt lgkmcnt(2)
	;;#ASMSTART
	v_dot2_f32_f16 v46, v48, v56, v46
	;;#ASMEND
	;;#ASMSTART
	v_dot2_f32_f16 v46, v49, v57, v46
	;;#ASMEND
	;;#ASMSTART
	v_dot2_f32_f16 v46, v50, v58, v46
	;;#ASMEND
	;;#ASMSTART
	v_dot2_f32_f16 v46, v51, v59, v46
	;;#ASMEND
	s_waitcnt lgkmcnt(1)
	;;#ASMSTART
	v_dot2_f32_f16 v3, v48, v60, v3
	;;#ASMEND
	;;#ASMSTART
	v_dot2_f32_f16 v3, v49, v61, v3
	;;#ASMEND
	;;#ASMSTART
	v_dot2_f32_f16 v3, v50, v62, v3
	;;#ASMEND
	;;#ASMSTART
	v_dot2_f32_f16 v3, v51, v63, v3
	;;#ASMEND
	s_waitcnt lgkmcnt(0)
	;;#ASMSTART
	v_dot2_f32_f16 v4, v48, v64, v4
	;;#ASMEND
	;;#ASMSTART
	v_dot2_f32_f16 v4, v49, v65, v4
	;;#ASMEND
	;;#ASMSTART
	v_dot2_f32_f16 v4, v50, v66, v4
	;;#ASMEND
	;;#ASMSTART
	v_dot2_f32_f16 v4, v51, v67, v4
	;;#ASMEND
	ds_read_b128 v[48:51], v23 offset:48
	ds_read_b128 v[52:55], v8 offset:48
	ds_read_b128 v[56:59], v8 offset:432
	ds_read_b128 v[60:63], v8 offset:816
	ds_read_b128 v[64:67], v8 offset:1200
	s_waitcnt lgkmcnt(3)
	;;#ASMSTART
	v_dot2_f32_f16 v47, v48, v52, v47
	;;#ASMEND
	;;#ASMSTART
	v_dot2_f32_f16 v47, v49, v53, v47
	;;#ASMEND
	;;#ASMSTART
	v_dot2_f32_f16 v47, v50, v54, v47
	;;#ASMEND
	;;#ASMSTART
	v_dot2_f32_f16 v47, v51, v55, v47
	;;#ASMEND
	s_waitcnt lgkmcnt(2)
	;;#ASMSTART
	v_dot2_f32_f16 v46, v48, v56, v46
	;;#ASMEND
	;;#ASMSTART
	v_dot2_f32_f16 v46, v49, v57, v46
	;;#ASMEND
	;;#ASMSTART
	v_dot2_f32_f16 v46, v50, v58, v46
	;;#ASMEND
	;;#ASMSTART
	v_dot2_f32_f16 v46, v51, v59, v46
	;;#ASMEND
	s_waitcnt lgkmcnt(1)
	;;#ASMSTART
	v_dot2_f32_f16 v3, v48, v60, v3
	;;#ASMEND
	;;#ASMSTART
	v_dot2_f32_f16 v3, v49, v61, v3
	;;#ASMEND
	;;#ASMSTART
	v_dot2_f32_f16 v3, v50, v62, v3
	;;#ASMEND
	;;#ASMSTART
	v_dot2_f32_f16 v3, v51, v63, v3
	;;#ASMEND
	s_waitcnt lgkmcnt(0)
	;;#ASMSTART
	v_dot2_f32_f16 v4, v48, v64, v4
	;;#ASMEND
	;;#ASMSTART
	v_dot2_f32_f16 v4, v49, v65, v4
	;;#ASMEND
	;;#ASMSTART
	v_dot2_f32_f16 v4, v50, v66, v4
	;;#ASMEND
	;;#ASMSTART
	v_dot2_f32_f16 v4, v51, v67, v4
	;;#ASMEND
	ds_read_b128 v[48:51], v23 offset:64
	ds_read_b128 v[52:55], v8 offset:64
	ds_read_b128 v[56:59], v8 offset:448
	ds_read_b128 v[60:63], v8 offset:832
	ds_read_b128 v[64:67], v8 offset:1216
	s_waitcnt lgkmcnt(3)
	;;#ASMSTART
	v_dot2_f32_f16 v47, v48, v52, v47
	;;#ASMEND
	;;#ASMSTART
	v_dot2_f32_f16 v47, v49, v53, v47
	;;#ASMEND
	;;#ASMSTART
	v_dot2_f32_f16 v47, v50, v54, v47
	;;#ASMEND
	;;#ASMSTART
	v_dot2_f32_f16 v47, v51, v55, v47
	;;#ASMEND
	s_waitcnt lgkmcnt(2)
	;;#ASMSTART
	v_dot2_f32_f16 v46, v48, v56, v46
	;;#ASMEND
	;;#ASMSTART
	v_dot2_f32_f16 v46, v49, v57, v46
	;;#ASMEND
	;;#ASMSTART
	v_dot2_f32_f16 v46, v50, v58, v46
	;;#ASMEND
	;;#ASMSTART
	v_dot2_f32_f16 v46, v51, v59, v46
	;;#ASMEND
	s_waitcnt lgkmcnt(1)
	;;#ASMSTART
	v_dot2_f32_f16 v3, v48, v60, v3
	;;#ASMEND
	;;#ASMSTART
	v_dot2_f32_f16 v3, v49, v61, v3
	;;#ASMEND
	;;#ASMSTART
	v_dot2_f32_f16 v3, v50, v62, v3
	;;#ASMEND
	;;#ASMSTART
	v_dot2_f32_f16 v3, v51, v63, v3
	;;#ASMEND
	s_waitcnt lgkmcnt(0)
	;;#ASMSTART
	v_dot2_f32_f16 v4, v48, v64, v4
	;;#ASMEND
	;;#ASMSTART
	v_dot2_f32_f16 v4, v49, v65, v4
	;;#ASMEND
	;;#ASMSTART
	v_dot2_f32_f16 v4, v50, v66, v4
	;;#ASMEND
	;;#ASMSTART
	v_dot2_f32_f16 v4, v51, v67, v4
	;;#ASMEND
	ds_read_b128 v[48:51], v23 offset:80
	ds_read_b128 v[52:55], v8 offset:80
	ds_read_b128 v[56:59], v8 offset:464
	ds_read_b128 v[60:63], v8 offset:848
	ds_read_b128 v[64:67], v8 offset:1232
	s_waitcnt lgkmcnt(3)
	;;#ASMSTART
	v_dot2_f32_f16 v47, v48, v52, v47
	;;#ASMEND
	;;#ASMSTART
	v_dot2_f32_f16 v47, v49, v53, v47
	;;#ASMEND
	;;#ASMSTART
	v_dot2_f32_f16 v47, v50, v54, v47
	;;#ASMEND
	;;#ASMSTART
	v_dot2_f32_f16 v47, v51, v55, v47
	;;#ASMEND
	s_waitcnt lgkmcnt(2)
	;;#ASMSTART
	v_dot2_f32_f16 v46, v48, v56, v46
	;;#ASMEND
	;;#ASMSTART
	v_dot2_f32_f16 v46, v49, v57, v46
	;;#ASMEND
	;;#ASMSTART
	v_dot2_f32_f16 v46, v50, v58, v46
	;;#ASMEND
	;;#ASMSTART
	v_dot2_f32_f16 v46, v51, v59, v46
	;;#ASMEND
	s_waitcnt lgkmcnt(1)
	;;#ASMSTART
	v_dot2_f32_f16 v3, v48, v60, v3
	;;#ASMEND
	;;#ASMSTART
	v_dot2_f32_f16 v3, v49, v61, v3
	;;#ASMEND
	;;#ASMSTART
	v_dot2_f32_f16 v3, v50, v62, v3
	;;#ASMEND
	;;#ASMSTART
	v_dot2_f32_f16 v3, v51, v63, v3
	;;#ASMEND
	s_waitcnt lgkmcnt(0)
	;;#ASMSTART
	v_dot2_f32_f16 v4, v48, v64, v4
	;;#ASMEND
	;;#ASMSTART
	v_dot2_f32_f16 v4, v49, v65, v4
	;;#ASMEND
	;;#ASMSTART
	v_dot2_f32_f16 v4, v50, v66, v4
	;;#ASMEND
	;;#ASMSTART
	v_dot2_f32_f16 v4, v51, v67, v4
	;;#ASMEND
	ds_read_b128 v[48:51], v23 offset:96
	ds_read_b128 v[52:55], v8 offset:96
	ds_read_b128 v[56:59], v8 offset:480
	ds_read_b128 v[60:63], v8 offset:864
	ds_read_b128 v[64:67], v8 offset:1248
	s_waitcnt lgkmcnt(3)
	;;#ASMSTART
	v_dot2_f32_f16 v47, v48, v52, v47
	;;#ASMEND
	;;#ASMSTART
	v_dot2_f32_f16 v47, v49, v53, v47
	;;#ASMEND
	;;#ASMSTART
	v_dot2_f32_f16 v47, v50, v54, v47
	;;#ASMEND
	;;#ASMSTART
	v_dot2_f32_f16 v47, v51, v55, v47
	;;#ASMEND
	s_waitcnt lgkmcnt(2)
	;;#ASMSTART
	v_dot2_f32_f16 v46, v48, v56, v46
	;;#ASMEND
	;;#ASMSTART
	v_dot2_f32_f16 v46, v49, v57, v46
	;;#ASMEND
	;;#ASMSTART
	v_dot2_f32_f16 v46, v50, v58, v46
	;;#ASMEND
	;;#ASMSTART
	v_dot2_f32_f16 v46, v51, v59, v46
	;;#ASMEND
	s_waitcnt lgkmcnt(1)
	;;#ASMSTART
	v_dot2_f32_f16 v3, v48, v60, v3
	;;#ASMEND
	;;#ASMSTART
	v_dot2_f32_f16 v3, v49, v61, v3
	;;#ASMEND
	;;#ASMSTART
	v_dot2_f32_f16 v3, v50, v62, v3
	;;#ASMEND
	;;#ASMSTART
	v_dot2_f32_f16 v3, v51, v63, v3
	;;#ASMEND
	s_waitcnt lgkmcnt(0)
	;;#ASMSTART
	v_dot2_f32_f16 v4, v48, v64, v4
	;;#ASMEND
	;;#ASMSTART
	v_dot2_f32_f16 v4, v49, v65, v4
	;;#ASMEND
	;;#ASMSTART
	v_dot2_f32_f16 v4, v50, v66, v4
	;;#ASMEND
	;;#ASMSTART
	v_dot2_f32_f16 v4, v51, v67, v4
	;;#ASMEND
	ds_read_b128 v[48:51], v23 offset:112
	ds_read_b128 v[52:55], v8 offset:112
	ds_read_b128 v[56:59], v8 offset:496
	ds_read_b128 v[60:63], v8 offset:880
	ds_read_b128 v[64:67], v8 offset:1264
	s_waitcnt lgkmcnt(3)
	;;#ASMSTART
	v_dot2_f32_f16 v47, v48, v52, v47
	;;#ASMEND
	;;#ASMSTART
	v_dot2_f32_f16 v47, v49, v53, v47
	;;#ASMEND
	;;#ASMSTART
	v_dot2_f32_f16 v47, v50, v54, v47
	;;#ASMEND
	;;#ASMSTART
	v_dot2_f32_f16 v47, v51, v55, v47
	;;#ASMEND
	s_waitcnt lgkmcnt(2)
	;;#ASMSTART
	v_dot2_f32_f16 v46, v48, v56, v46
	;;#ASMEND
	;;#ASMSTART
	v_dot2_f32_f16 v46, v49, v57, v46
	;;#ASMEND
	;;#ASMSTART
	v_dot2_f32_f16 v46, v50, v58, v46
	;;#ASMEND
	;;#ASMSTART
	v_dot2_f32_f16 v46, v51, v59, v46
	;;#ASMEND
	s_waitcnt lgkmcnt(1)
	;;#ASMSTART
	v_dot2_f32_f16 v3, v48, v60, v3
	;;#ASMEND
	;;#ASMSTART
	v_dot2_f32_f16 v3, v49, v61, v3
	;;#ASMEND
	;;#ASMSTART
	v_dot2_f32_f16 v3, v50, v62, v3
	;;#ASMEND
	;; [unrolled: 13-line block ×3, first 2 shown]
	;;#ASMSTART
	v_dot2_f32_f16 v4, v51, v67, v4
	;;#ASMEND
	s_barrier
	global_load_dwordx4 v[48:51], v[1:2], off offset:128
	s_waitcnt vmcnt(0)
	ds_write_b128 v20, v[48:51]
	s_waitcnt lgkmcnt(0)
	s_barrier
	ds_read_b128 v[48:51], v23
	ds_read_b128 v[52:55], v8 offset:128
	ds_read_b128 v[56:59], v8 offset:512
	ds_read_b128 v[60:63], v8 offset:896
	ds_read_b128 v[64:67], v8 offset:1280
	s_waitcnt lgkmcnt(3)
	;;#ASMSTART
	v_dot2_f32_f16 v47, v48, v52, v47
	;;#ASMEND
	;;#ASMSTART
	v_dot2_f32_f16 v47, v49, v53, v47
	;;#ASMEND
	;;#ASMSTART
	v_dot2_f32_f16 v47, v50, v54, v47
	;;#ASMEND
	;;#ASMSTART
	v_dot2_f32_f16 v47, v51, v55, v47
	;;#ASMEND
	s_waitcnt lgkmcnt(2)
	;;#ASMSTART
	v_dot2_f32_f16 v46, v48, v56, v46
	;;#ASMEND
	;;#ASMSTART
	v_dot2_f32_f16 v46, v49, v57, v46
	;;#ASMEND
	;;#ASMSTART
	v_dot2_f32_f16 v46, v50, v58, v46
	;;#ASMEND
	;;#ASMSTART
	v_dot2_f32_f16 v46, v51, v59, v46
	;;#ASMEND
	s_waitcnt lgkmcnt(1)
	;;#ASMSTART
	v_dot2_f32_f16 v3, v48, v60, v3
	;;#ASMEND
	;;#ASMSTART
	v_dot2_f32_f16 v3, v49, v61, v3
	;;#ASMEND
	;;#ASMSTART
	v_dot2_f32_f16 v3, v50, v62, v3
	;;#ASMEND
	;;#ASMSTART
	v_dot2_f32_f16 v3, v51, v63, v3
	;;#ASMEND
	s_waitcnt lgkmcnt(0)
	;;#ASMSTART
	v_dot2_f32_f16 v4, v48, v64, v4
	;;#ASMEND
	;;#ASMSTART
	v_dot2_f32_f16 v4, v49, v65, v4
	;;#ASMEND
	;;#ASMSTART
	v_dot2_f32_f16 v4, v50, v66, v4
	;;#ASMEND
	;;#ASMSTART
	v_dot2_f32_f16 v4, v51, v67, v4
	;;#ASMEND
	ds_read_b128 v[48:51], v23 offset:16
	ds_read_b128 v[52:55], v8 offset:144
	ds_read_b128 v[56:59], v8 offset:528
	ds_read_b128 v[60:63], v8 offset:912
	ds_read_b128 v[64:67], v8 offset:1296
	s_waitcnt lgkmcnt(3)
	;;#ASMSTART
	v_dot2_f32_f16 v47, v48, v52, v47
	;;#ASMEND
	;;#ASMSTART
	v_dot2_f32_f16 v47, v49, v53, v47
	;;#ASMEND
	;;#ASMSTART
	v_dot2_f32_f16 v47, v50, v54, v47
	;;#ASMEND
	;;#ASMSTART
	v_dot2_f32_f16 v47, v51, v55, v47
	;;#ASMEND
	s_waitcnt lgkmcnt(2)
	;;#ASMSTART
	v_dot2_f32_f16 v46, v48, v56, v46
	;;#ASMEND
	;;#ASMSTART
	v_dot2_f32_f16 v46, v49, v57, v46
	;;#ASMEND
	;;#ASMSTART
	v_dot2_f32_f16 v46, v50, v58, v46
	;;#ASMEND
	;;#ASMSTART
	v_dot2_f32_f16 v46, v51, v59, v46
	;;#ASMEND
	s_waitcnt lgkmcnt(1)
	;;#ASMSTART
	v_dot2_f32_f16 v3, v48, v60, v3
	;;#ASMEND
	;;#ASMSTART
	v_dot2_f32_f16 v3, v49, v61, v3
	;;#ASMEND
	;;#ASMSTART
	v_dot2_f32_f16 v3, v50, v62, v3
	;;#ASMEND
	;;#ASMSTART
	v_dot2_f32_f16 v3, v51, v63, v3
	;;#ASMEND
	s_waitcnt lgkmcnt(0)
	;;#ASMSTART
	v_dot2_f32_f16 v4, v48, v64, v4
	;;#ASMEND
	;;#ASMSTART
	v_dot2_f32_f16 v4, v49, v65, v4
	;;#ASMEND
	;;#ASMSTART
	v_dot2_f32_f16 v4, v50, v66, v4
	;;#ASMEND
	;;#ASMSTART
	v_dot2_f32_f16 v4, v51, v67, v4
	;;#ASMEND
	ds_read_b128 v[48:51], v23 offset:32
	;; [unrolled: 57-line block ×7, first 2 shown]
	ds_read_b128 v[52:55], v8 offset:240
	ds_read_b128 v[56:59], v8 offset:624
	;; [unrolled: 1-line block ×4, first 2 shown]
	s_waitcnt lgkmcnt(3)
	;;#ASMSTART
	v_dot2_f32_f16 v47, v48, v52, v47
	;;#ASMEND
	;;#ASMSTART
	v_dot2_f32_f16 v47, v49, v53, v47
	;;#ASMEND
	;;#ASMSTART
	v_dot2_f32_f16 v47, v50, v54, v47
	;;#ASMEND
	;;#ASMSTART
	v_dot2_f32_f16 v47, v51, v55, v47
	;;#ASMEND
	s_waitcnt lgkmcnt(2)
	;;#ASMSTART
	v_dot2_f32_f16 v46, v48, v56, v46
	;;#ASMEND
	;;#ASMSTART
	v_dot2_f32_f16 v46, v49, v57, v46
	;;#ASMEND
	;;#ASMSTART
	v_dot2_f32_f16 v46, v50, v58, v46
	;;#ASMEND
	;;#ASMSTART
	v_dot2_f32_f16 v46, v51, v59, v46
	;;#ASMEND
	;; [unrolled: 13-line block ×4, first 2 shown]
	s_barrier
	global_load_dwordx4 v[48:51], v[1:2], off offset:256
	v_add_u32_e32 v1, s6, v5
	v_ashrrev_i32_e32 v2, 31, v1
	v_lshlrev_b64 v[1:2], 1, v[1:2]
	v_add_co_u32_e32 v1, vcc, s26, v1
	v_addc_co_u32_e32 v2, vcc, v28, v2, vcc
	v_cmp_lt_i32_e32 vcc, v18, v10
	s_waitcnt vmcnt(0)
	ds_write_b128 v20, v[48:51]
	s_waitcnt lgkmcnt(0)
	s_barrier
	ds_read_b128 v[48:51], v23
	ds_read_b128 v[52:55], v8 offset:256
	ds_read_b128 v[56:59], v8 offset:640
	ds_read_b128 v[60:63], v8 offset:1024
	ds_read_b128 v[64:67], v8 offset:1408
	s_waitcnt lgkmcnt(3)
	;;#ASMSTART
	v_dot2_f32_f16 v47, v48, v52, v47
	;;#ASMEND
	;;#ASMSTART
	v_dot2_f32_f16 v47, v49, v53, v47
	;;#ASMEND
	;;#ASMSTART
	v_dot2_f32_f16 v47, v50, v54, v47
	;;#ASMEND
	;;#ASMSTART
	v_dot2_f32_f16 v47, v51, v55, v47
	;;#ASMEND
	s_waitcnt lgkmcnt(2)
	;;#ASMSTART
	v_dot2_f32_f16 v46, v48, v56, v46
	;;#ASMEND
	;;#ASMSTART
	v_dot2_f32_f16 v46, v49, v57, v46
	;;#ASMEND
	;;#ASMSTART
	v_dot2_f32_f16 v46, v50, v58, v46
	;;#ASMEND
	;;#ASMSTART
	v_dot2_f32_f16 v46, v51, v59, v46
	;;#ASMEND
	s_waitcnt lgkmcnt(1)
	;;#ASMSTART
	v_dot2_f32_f16 v3, v48, v60, v3
	;;#ASMEND
	;;#ASMSTART
	v_dot2_f32_f16 v3, v49, v61, v3
	;;#ASMEND
	;;#ASMSTART
	v_dot2_f32_f16 v3, v50, v62, v3
	;;#ASMEND
	;;#ASMSTART
	v_dot2_f32_f16 v3, v51, v63, v3
	;;#ASMEND
	s_waitcnt lgkmcnt(0)
	;;#ASMSTART
	v_dot2_f32_f16 v4, v48, v64, v4
	;;#ASMEND
	;;#ASMSTART
	v_dot2_f32_f16 v4, v49, v65, v4
	;;#ASMEND
	;;#ASMSTART
	v_dot2_f32_f16 v4, v50, v66, v4
	;;#ASMEND
	;;#ASMSTART
	v_dot2_f32_f16 v4, v51, v67, v4
	;;#ASMEND
	ds_read_b128 v[48:51], v23 offset:16
	ds_read_b128 v[52:55], v8 offset:272
	ds_read_b128 v[56:59], v8 offset:656
	ds_read_b128 v[60:63], v8 offset:1040
	ds_read_b128 v[64:67], v8 offset:1424
	s_waitcnt lgkmcnt(3)
	;;#ASMSTART
	v_dot2_f32_f16 v47, v48, v52, v47
	;;#ASMEND
	;;#ASMSTART
	v_dot2_f32_f16 v47, v49, v53, v47
	;;#ASMEND
	;;#ASMSTART
	v_dot2_f32_f16 v47, v50, v54, v47
	;;#ASMEND
	;;#ASMSTART
	v_dot2_f32_f16 v47, v51, v55, v47
	;;#ASMEND
	s_waitcnt lgkmcnt(2)
	;;#ASMSTART
	v_dot2_f32_f16 v46, v48, v56, v46
	;;#ASMEND
	;;#ASMSTART
	v_dot2_f32_f16 v46, v49, v57, v46
	;;#ASMEND
	;;#ASMSTART
	v_dot2_f32_f16 v46, v50, v58, v46
	;;#ASMEND
	;;#ASMSTART
	v_dot2_f32_f16 v46, v51, v59, v46
	;;#ASMEND
	s_waitcnt lgkmcnt(1)
	;;#ASMSTART
	v_dot2_f32_f16 v3, v48, v60, v3
	;;#ASMEND
	;;#ASMSTART
	v_dot2_f32_f16 v3, v49, v61, v3
	;;#ASMEND
	;;#ASMSTART
	v_dot2_f32_f16 v3, v50, v62, v3
	;;#ASMEND
	;;#ASMSTART
	v_dot2_f32_f16 v3, v51, v63, v3
	;;#ASMEND
	s_waitcnt lgkmcnt(0)
	;;#ASMSTART
	v_dot2_f32_f16 v4, v48, v64, v4
	;;#ASMEND
	;;#ASMSTART
	v_dot2_f32_f16 v4, v49, v65, v4
	;;#ASMEND
	;;#ASMSTART
	v_dot2_f32_f16 v4, v50, v66, v4
	;;#ASMEND
	;;#ASMSTART
	v_dot2_f32_f16 v4, v51, v67, v4
	;;#ASMEND
	ds_read_b128 v[48:51], v23 offset:32
	;; [unrolled: 57-line block ×7, first 2 shown]
	ds_read_b128 v[52:55], v8 offset:368
	ds_read_b128 v[56:59], v8 offset:752
	;; [unrolled: 1-line block ×4, first 2 shown]
	s_waitcnt lgkmcnt(3)
	;;#ASMSTART
	v_dot2_f32_f16 v47, v48, v52, v47
	;;#ASMEND
	;;#ASMSTART
	v_dot2_f32_f16 v47, v49, v53, v47
	;;#ASMEND
	;;#ASMSTART
	v_dot2_f32_f16 v47, v50, v54, v47
	;;#ASMEND
	;;#ASMSTART
	v_dot2_f32_f16 v47, v51, v55, v47
	;;#ASMEND
	s_waitcnt lgkmcnt(2)
	;;#ASMSTART
	v_dot2_f32_f16 v46, v48, v56, v46
	;;#ASMEND
	;;#ASMSTART
	v_dot2_f32_f16 v46, v49, v57, v46
	;;#ASMEND
	;;#ASMSTART
	v_dot2_f32_f16 v46, v50, v58, v46
	;;#ASMEND
	;;#ASMSTART
	v_dot2_f32_f16 v46, v51, v59, v46
	;;#ASMEND
	;; [unrolled: 13-line block ×4, first 2 shown]
	global_load_ushort v1, v[1:2], off
	v_max_f32_e32 v2, v41, v41
	v_max_f32_e32 v54, v42, v42
	;; [unrolled: 1-line block ×3, first 2 shown]
	s_waitcnt vmcnt(0)
	s_barrier
	v_cvt_f32_f16_e32 v48, v1
	v_cndmask_b32_e32 v1, v9, v18, vcc
	v_cmp_lt_i32_e32 vcc, v17, v10
	v_lshlrev_b32_e32 v49, 2, v1
	v_cndmask_b32_e32 v1, v9, v17, vcc
	v_cmp_lt_i32_e32 vcc, v16, v10
	v_lshlrev_b32_e32 v50, 2, v1
	;; [unrolled: 3-line block ×4, first 2 shown]
	v_cndmask_b32_e32 v1, v9, v12, vcc
	v_add_f32_e32 v47, v47, v48
	v_lshlrev_b32_e32 v53, 2, v1
	v_add_f32_e32 v1, 0x40051340, v47
	v_max_f32_e32 v1, v2, v1
	ds_bpermute_b32 v2, v49, v1
	v_add_f32_e32 v46, v46, v48
	s_waitcnt lgkmcnt(0)
	v_max_f32_e32 v2, v2, v2
	v_max_f32_e32 v1, v1, v2
	ds_bpermute_b32 v2, v50, v1
	s_waitcnt lgkmcnt(0)
	v_max_f32_e32 v2, v2, v2
	v_max_f32_e32 v1, v1, v2
	ds_bpermute_b32 v2, v51, v1
	;; [unrolled: 4-line block ×4, first 2 shown]
	s_waitcnt lgkmcnt(0)
	v_max_f32_e32 v2, v2, v2
	v_max_f32_e32 v1, v1, v2
	v_add_f32_e32 v2, 0x40051340, v46
	v_max_f32_e32 v2, v54, v2
	ds_bpermute_b32 v54, v49, v2
	v_sub_f32_e32 v41, v41, v1
	v_cmp_ngt_f32_e32 vcc, s11, v41
	s_waitcnt lgkmcnt(0)
	v_max_f32_e32 v54, v54, v54
	v_max_f32_e32 v2, v2, v54
	ds_bpermute_b32 v54, v50, v2
	s_waitcnt lgkmcnt(0)
	v_max_f32_e32 v54, v54, v54
	v_max_f32_e32 v2, v2, v54
	ds_bpermute_b32 v54, v51, v2
	;; [unrolled: 4-line block ×4, first 2 shown]
	s_waitcnt lgkmcnt(0)
	v_max_f32_e32 v54, v54, v54
	v_max_f32_e32 v2, v2, v54
	v_add_f32_e32 v54, v3, v48
	v_add_f32_e32 v3, 0x40051340, v54
	v_max_f32_e32 v3, v55, v3
	ds_bpermute_b32 v55, v49, v3
	v_add_f32_e32 v48, v4, v48
	v_add_f32_e32 v4, 0x40051340, v48
	v_sub_f32_e32 v42, v42, v2
	s_waitcnt lgkmcnt(0)
	v_max_f32_e32 v55, v55, v55
	v_max_f32_e32 v3, v3, v55
	ds_bpermute_b32 v55, v50, v3
	s_waitcnt lgkmcnt(0)
	v_max_f32_e32 v55, v55, v55
	v_max_f32_e32 v3, v3, v55
	ds_bpermute_b32 v55, v51, v3
	;; [unrolled: 4-line block ×4, first 2 shown]
	s_waitcnt lgkmcnt(0)
	v_max_f32_e32 v55, v55, v55
	v_max_f32_e32 v3, v3, v55
	;; [unrolled: 1-line block ×4, first 2 shown]
	ds_bpermute_b32 v49, v49, v4
	v_sub_f32_e32 v43, v43, v3
	s_waitcnt lgkmcnt(0)
	v_max_f32_e32 v49, v49, v49
	v_max_f32_e32 v4, v4, v49
	ds_bpermute_b32 v49, v50, v4
	s_waitcnt lgkmcnt(0)
	v_max_f32_e32 v49, v49, v49
	v_max_f32_e32 v4, v4, v49
	ds_bpermute_b32 v49, v51, v4
	;; [unrolled: 4-line block ×4, first 2 shown]
	s_waitcnt lgkmcnt(0)
	v_max_f32_e32 v49, v49, v49
	v_max_f32_e32 v4, v4, v49
	v_mul_f32_e32 v49, 0x3fb8aa3b, v41
	v_fma_f32 v50, v41, s10, -v49
	v_rndne_f32_e32 v51, v49
	v_fmac_f32_e32 v50, 0x32a5705f, v41
	v_sub_f32_e32 v49, v49, v51
	v_add_f32_e32 v49, v49, v50
	v_exp_f32_e32 v49, v49
	v_cvt_i32_f32_e32 v50, v51
	v_sub_f32_e32 v6, v6, v4
	v_ldexp_f32 v49, v49, v50
	v_cndmask_b32_e32 v49, 0, v49, vcc
	v_cmp_nlt_f32_e32 vcc, s12, v41
	v_sub_f32_e32 v41, v47, v1
	v_mul_f32_e32 v47, 0x3fb8aa3b, v41
	v_fma_f32 v50, v41, s10, -v47
	v_rndne_f32_e32 v51, v47
	v_fmac_f32_e32 v50, 0x32a5705f, v41
	v_sub_f32_e32 v47, v47, v51
	v_add_f32_e32 v47, v47, v50
	v_exp_f32_e32 v47, v47
	v_cvt_i32_f32_e32 v50, v51
	v_cndmask_b32_e32 v49, v29, v49, vcc
	v_cmp_ngt_f32_e32 vcc, s11, v41
	v_ldexp_f32 v47, v47, v50
	v_cndmask_b32_e32 v47, 0, v47, vcc
	v_cmp_nlt_f32_e32 vcc, s12, v41
	v_cndmask_b32_e32 v41, v29, v47, vcc
	v_cvt_f16_f32_e32 v47, v41
	v_fmac_f32_e32 v41, v45, v49
	v_cvt_f16_f32_e32 v45, v49
	v_mul_f32_e32 v49, 0x3fb8aa3b, v42
	v_fma_f32 v50, v42, s10, -v49
	v_rndne_f32_e32 v51, v49
	v_fmac_f32_e32 v50, 0x32a5705f, v42
	v_sub_f32_e32 v49, v49, v51
	v_add_f32_e32 v49, v49, v50
	v_exp_f32_e32 v49, v49
	v_cvt_i32_f32_e32 v50, v51
	v_cmp_ngt_f32_e32 vcc, s11, v42
	v_mul_u32_u24_e32 v45, 0x10001, v45
	v_pk_mul_f16 v40, v40, v45
	v_ldexp_f32 v49, v49, v50
	v_cndmask_b32_e32 v49, 0, v49, vcc
	v_cmp_nlt_f32_e32 vcc, s12, v42
	v_sub_f32_e32 v42, v46, v2
	v_mul_f32_e32 v46, 0x3fb8aa3b, v42
	v_fma_f32 v50, v42, s10, -v46
	v_rndne_f32_e32 v51, v46
	v_fmac_f32_e32 v50, 0x32a5705f, v42
	v_sub_f32_e32 v46, v46, v51
	v_add_f32_e32 v46, v46, v50
	v_exp_f32_e32 v46, v46
	v_cvt_i32_f32_e32 v50, v51
	v_cndmask_b32_e32 v49, v29, v49, vcc
	v_cmp_ngt_f32_e32 vcc, s11, v42
	v_ldexp_f32 v46, v46, v50
	v_cndmask_b32_e32 v46, 0, v46, vcc
	v_cmp_nlt_f32_e32 vcc, s12, v42
	v_cndmask_b32_e32 v42, v29, v46, vcc
	v_mul_f32_e32 v46, 0x3fb8aa3b, v43
	v_cvt_f16_f32_e32 v50, v42
	v_fmac_f32_e32 v42, v44, v49
	v_cvt_f16_f32_e32 v44, v49
	v_fma_f32 v49, v43, s10, -v46
	v_rndne_f32_e32 v51, v46
	v_fmac_f32_e32 v49, 0x32a5705f, v43
	v_sub_f32_e32 v46, v46, v51
	v_add_f32_e32 v46, v46, v49
	v_exp_f32_e32 v46, v46
	v_cvt_i32_f32_e32 v49, v51
	v_cmp_ngt_f32_e32 vcc, s11, v43
	v_pack_b32_f16 v47, v47, v50
	v_mul_u32_u24_e32 v44, 0x10001, v44
	v_ldexp_f32 v46, v46, v49
	v_cndmask_b32_e32 v46, 0, v46, vcc
	v_cmp_nlt_f32_e32 vcc, s12, v43
	v_sub_f32_e32 v43, v54, v3
	v_mul_f32_e32 v49, 0x3fb8aa3b, v43
	v_fma_f32 v51, v43, s10, -v49
	v_rndne_f32_e32 v52, v49
	v_fmac_f32_e32 v51, 0x32a5705f, v43
	v_sub_f32_e32 v49, v49, v52
	v_add_f32_e32 v49, v49, v51
	v_exp_f32_e32 v49, v49
	v_cvt_i32_f32_e32 v51, v52
	v_cndmask_b32_e32 v46, v29, v46, vcc
	v_cmp_ngt_f32_e32 vcc, s11, v43
	v_pk_mul_f16 v39, v39, v44
	v_ldexp_f32 v49, v49, v51
	v_cndmask_b32_e32 v49, 0, v49, vcc
	v_cmp_nlt_f32_e32 vcc, s12, v43
	v_cndmask_b32_e32 v43, v29, v49, vcc
	v_cvt_f16_f32_e32 v49, v43
	v_fmac_f32_e32 v43, v7, v46
	v_cvt_f16_f32_e32 v7, v46
	v_cmp_ngt_f32_e32 vcc, s11, v6
	v_mul_u32_u24_e32 v46, 0x10001, v7
	v_pk_mul_f16 v7, v38, v46
	v_mul_f32_e32 v38, 0x3fb8aa3b, v6
	v_fma_f32 v51, v6, s10, -v38
	v_rndne_f32_e32 v52, v38
	v_fmac_f32_e32 v51, 0x32a5705f, v6
	v_sub_f32_e32 v38, v38, v52
	v_add_f32_e32 v38, v38, v51
	v_exp_f32_e32 v38, v38
	v_cvt_i32_f32_e32 v51, v52
	v_ldexp_f32 v38, v38, v51
	v_cndmask_b32_e32 v38, 0, v38, vcc
	v_cmp_nlt_f32_e32 vcc, s12, v6
	v_cndmask_b32_e32 v6, v29, v38, vcc
	v_sub_f32_e32 v38, v48, v4
	v_mul_f32_e32 v48, 0x3fb8aa3b, v38
	v_fma_f32 v51, v38, s10, -v48
	v_rndne_f32_e32 v52, v48
	v_fmac_f32_e32 v51, 0x32a5705f, v38
	v_sub_f32_e32 v48, v48, v52
	v_add_f32_e32 v48, v48, v51
	v_exp_f32_e32 v48, v48
	v_cvt_i32_f32_e32 v51, v52
	v_cmp_ngt_f32_e32 vcc, s11, v38
	v_ldexp_f32 v48, v48, v51
	v_cndmask_b32_e32 v48, 0, v48, vcc
	v_cmp_nlt_f32_e32 vcc, s12, v38
	v_cndmask_b32_e32 v38, v29, v48, vcc
	v_mov_b32_e32 v51, v19
	v_mov_b32_e32 v19, v38
	v_cvt_f16_f32_e32 v48, v38
	v_fmac_f32_e32 v19, v51, v6
	v_cvt_f16_f32_e32 v6, v6
	v_pack_b32_f16 v48, v49, v48
	ds_write_b64 v30, v[47:48]
	v_mul_u32_u24_e32 v6, 0x10001, v6
	v_pk_mul_f16 v37, v37, v6
	v_pk_mul_f16 v6, v36, v6
	v_add_co_u32_e32 v47, vcc, s14, v26
	v_mov_b32_e32 v36, s15
	v_addc_co_u32_e32 v48, vcc, v27, v36, vcc
	global_load_dwordx4 v[47:50], v[47:48], off
	s_or_b32 s14, s6, 16
	s_mul_hi_i32 s15, s14, s8
	s_mul_i32 s14, s14, s8
	s_lshl_b64 s[14:15], s[14:15], 2
	s_waitcnt vmcnt(0)
	ds_write_b128 v25, v[47:50]
	s_waitcnt lgkmcnt(0)
	s_barrier
	ds_read2_b64 v[47:50], v31 offset1:32
	ds_read_b128 v[51:54], v24
	ds_read_b128 v[55:58], v24 offset:16
	ds_read_b128 v[59:62], v24 offset:32
	;; [unrolled: 1-line block ×3, first 2 shown]
	s_waitcnt lgkmcnt(3)
	v_mul_u32_u24_sdwa v36, v51, s13 dst_sel:DWORD dst_unused:UNUSED_PAD src0_sel:WORD_0 src1_sel:DWORD
	v_mul_u32_u24_sdwa v38, v51, s13 dst_sel:DWORD dst_unused:UNUSED_PAD src0_sel:WORD_1 src1_sel:DWORD
	v_pk_mul_f16 v67, v47, v36
	v_mul_u32_u24_sdwa v51, v52, s13 dst_sel:DWORD dst_unused:UNUSED_PAD src0_sel:WORD_0 src1_sel:DWORD
	v_pk_fma_f16 v35, v35, v45, v67
	v_pk_mul_f16 v45, v47, v38
	v_pk_fma_f16 v34, v34, v44, v45
	v_pk_mul_f16 v44, v47, v51
	v_mul_u32_u24_sdwa v52, v52, s13 dst_sel:DWORD dst_unused:UNUSED_PAD src0_sel:WORD_1 src1_sel:DWORD
	v_pk_fma_f16 v33, v33, v46, v44
	v_pk_fma_f16 v36, v48, v36, v40
	;; [unrolled: 1-line block ×3, first 2 shown]
	v_mul_u32_u24_sdwa v39, v53, s13 dst_sel:DWORD dst_unused:UNUSED_PAD src0_sel:WORD_0 src1_sel:DWORD
	v_mul_u32_u24_sdwa v40, v53, s13 dst_sel:DWORD dst_unused:UNUSED_PAD src0_sel:WORD_1 src1_sel:DWORD
	v_mul_u32_u24_sdwa v44, v54, s13 dst_sel:DWORD dst_unused:UNUSED_PAD src0_sel:WORD_0 src1_sel:DWORD
	v_pk_fma_f16 v37, v47, v52, v37
	v_pk_fma_f16 v7, v48, v51, v7
	;; [unrolled: 1-line block ×7, first 2 shown]
	ds_read2_b64 v[33:36], v31 offset0:64 offset1:96
	v_mul_u32_u24_sdwa v45, v54, s13 dst_sel:DWORD dst_unused:UNUSED_PAD src0_sel:WORD_1 src1_sel:DWORD
	v_pk_fma_f16 v37, v49, v45, v37
	v_pk_fma_f16 v38, v50, v40, v38
	;; [unrolled: 1-line block ×4, first 2 shown]
	s_waitcnt lgkmcnt(3)
	v_mul_u32_u24_sdwa v40, v55, s13 dst_sel:DWORD dst_unused:UNUSED_PAD src0_sel:WORD_0 src1_sel:DWORD
	v_mul_u32_u24_sdwa v44, v55, s13 dst_sel:DWORD dst_unused:UNUSED_PAD src0_sel:WORD_1 src1_sel:DWORD
	v_mul_u32_u24_sdwa v45, v56, s13 dst_sel:DWORD dst_unused:UNUSED_PAD src0_sel:WORD_0 src1_sel:DWORD
	v_mul_u32_u24_sdwa v49, v56, s13 dst_sel:DWORD dst_unused:UNUSED_PAD src0_sel:WORD_1 src1_sel:DWORD
	s_waitcnt lgkmcnt(0)
	v_pk_fma_f16 v46, v33, v40, v46
	v_pk_fma_f16 v47, v33, v44, v47
	;; [unrolled: 1-line block ×8, first 2 shown]
	v_mul_u32_u24_sdwa v34, v57, s13 dst_sel:DWORD dst_unused:UNUSED_PAD src0_sel:WORD_0 src1_sel:DWORD
	v_mul_u32_u24_sdwa v39, v57, s13 dst_sel:DWORD dst_unused:UNUSED_PAD src0_sel:WORD_1 src1_sel:DWORD
	v_mul_u32_u24_sdwa v40, v58, s13 dst_sel:DWORD dst_unused:UNUSED_PAD src0_sel:WORD_0 src1_sel:DWORD
	v_mul_u32_u24_sdwa v44, v58, s13 dst_sel:DWORD dst_unused:UNUSED_PAD src0_sel:WORD_1 src1_sel:DWORD
	v_pk_fma_f16 v45, v35, v34, v46
	v_pk_fma_f16 v46, v35, v39, v47
	;; [unrolled: 1-line block ×8, first 2 shown]
	ds_read2_b64 v[33:36], v31 offset0:128 offset1:160
	v_mul_u32_u24_sdwa v39, v59, s13 dst_sel:DWORD dst_unused:UNUSED_PAD src0_sel:WORD_0 src1_sel:DWORD
	v_mul_u32_u24_sdwa v40, v59, s13 dst_sel:DWORD dst_unused:UNUSED_PAD src0_sel:WORD_1 src1_sel:DWORD
	v_mul_u32_u24_sdwa v44, v60, s13 dst_sel:DWORD dst_unused:UNUSED_PAD src0_sel:WORD_0 src1_sel:DWORD
	v_mul_u32_u24_sdwa v49, v60, s13 dst_sel:DWORD dst_unused:UNUSED_PAD src0_sel:WORD_1 src1_sel:DWORD
	s_waitcnt lgkmcnt(0)
	v_pk_fma_f16 v45, v33, v39, v45
	v_pk_fma_f16 v46, v33, v40, v46
	;; [unrolled: 1-line block ×8, first 2 shown]
	v_mul_u32_u24_sdwa v34, v61, s13 dst_sel:DWORD dst_unused:UNUSED_PAD src0_sel:WORD_0 src1_sel:DWORD
	v_mul_u32_u24_sdwa v39, v61, s13 dst_sel:DWORD dst_unused:UNUSED_PAD src0_sel:WORD_1 src1_sel:DWORD
	v_mul_u32_u24_sdwa v40, v62, s13 dst_sel:DWORD dst_unused:UNUSED_PAD src0_sel:WORD_0 src1_sel:DWORD
	v_mul_u32_u24_sdwa v44, v62, s13 dst_sel:DWORD dst_unused:UNUSED_PAD src0_sel:WORD_1 src1_sel:DWORD
	v_pk_fma_f16 v45, v35, v34, v45
	v_pk_fma_f16 v46, v35, v39, v46
	;; [unrolled: 1-line block ×8, first 2 shown]
	ds_read2_b64 v[33:36], v31 offset0:192 offset1:224
	v_mul_u32_u24_sdwa v39, v63, s13 dst_sel:DWORD dst_unused:UNUSED_PAD src0_sel:WORD_0 src1_sel:DWORD
	v_mul_u32_u24_sdwa v40, v63, s13 dst_sel:DWORD dst_unused:UNUSED_PAD src0_sel:WORD_1 src1_sel:DWORD
	v_mul_u32_u24_sdwa v44, v64, s13 dst_sel:DWORD dst_unused:UNUSED_PAD src0_sel:WORD_0 src1_sel:DWORD
	v_mul_u32_u24_sdwa v49, v64, s13 dst_sel:DWORD dst_unused:UNUSED_PAD src0_sel:WORD_1 src1_sel:DWORD
	s_waitcnt lgkmcnt(0)
	v_pk_fma_f16 v45, v33, v39, v45
	v_pk_fma_f16 v46, v33, v40, v46
	;; [unrolled: 1-line block ×8, first 2 shown]
	v_mul_u32_u24_sdwa v34, v65, s13 dst_sel:DWORD dst_unused:UNUSED_PAD src0_sel:WORD_0 src1_sel:DWORD
	v_mul_u32_u24_sdwa v39, v65, s13 dst_sel:DWORD dst_unused:UNUSED_PAD src0_sel:WORD_1 src1_sel:DWORD
	v_mul_u32_u24_sdwa v40, v66, s13 dst_sel:DWORD dst_unused:UNUSED_PAD src0_sel:WORD_0 src1_sel:DWORD
	v_mul_u32_u24_sdwa v44, v66, s13 dst_sel:DWORD dst_unused:UNUSED_PAD src0_sel:WORD_1 src1_sel:DWORD
	v_pk_fma_f16 v45, v35, v34, v45
	v_pk_fma_f16 v46, v35, v39, v46
	;; [unrolled: 1-line block ×8, first 2 shown]
	ds_read2_b64 v[33:36], v32 offset1:32
	ds_read_b128 v[37:40], v24 offset:64
	s_waitcnt lgkmcnt(0)
	v_mul_u32_u24_sdwa v44, v37, s13 dst_sel:DWORD dst_unused:UNUSED_PAD src0_sel:WORD_0 src1_sel:DWORD
	v_mul_u32_u24_sdwa v37, v37, s13 dst_sel:DWORD dst_unused:UNUSED_PAD src0_sel:WORD_1 src1_sel:DWORD
	v_mul_u32_u24_sdwa v51, v38, s13 dst_sel:DWORD dst_unused:UNUSED_PAD src0_sel:WORD_0 src1_sel:DWORD
	v_mul_u32_u24_sdwa v38, v38, s13 dst_sel:DWORD dst_unused:UNUSED_PAD src0_sel:WORD_1 src1_sel:DWORD
	v_pk_fma_f16 v45, v33, v44, v45
	v_pk_fma_f16 v46, v33, v37, v46
	v_pk_fma_f16 v47, v33, v51, v47
	v_pk_fma_f16 v33, v33, v38, v48
	v_pk_fma_f16 v44, v34, v44, v49
	v_pk_fma_f16 v37, v34, v37, v50
	v_pk_fma_f16 v7, v34, v51, v7
	v_pk_fma_f16 v6, v34, v38, v6
	v_mul_u32_u24_sdwa v34, v39, s13 dst_sel:DWORD dst_unused:UNUSED_PAD src0_sel:WORD_0 src1_sel:DWORD
	v_mul_u32_u24_sdwa v38, v39, s13 dst_sel:DWORD dst_unused:UNUSED_PAD src0_sel:WORD_1 src1_sel:DWORD
	v_mul_u32_u24_sdwa v39, v40, s13 dst_sel:DWORD dst_unused:UNUSED_PAD src0_sel:WORD_0 src1_sel:DWORD
	v_mul_u32_u24_sdwa v40, v40, s13 dst_sel:DWORD dst_unused:UNUSED_PAD src0_sel:WORD_1 src1_sel:DWORD
	v_pk_fma_f16 v45, v35, v34, v45
	v_pk_fma_f16 v46, v35, v38, v46
	v_pk_fma_f16 v47, v35, v39, v47
	v_pk_fma_f16 v48, v35, v40, v33
	v_pk_fma_f16 v44, v36, v34, v44
	v_pk_fma_f16 v49, v36, v38, v37
	v_pk_fma_f16 v7, v36, v39, v7
	v_pk_fma_f16 v6, v36, v40, v6
	ds_read2_b64 v[33:36], v32 offset0:64 offset1:96
	ds_read_b128 v[37:40], v24 offset:80
	s_waitcnt lgkmcnt(0)
	v_mul_u32_u24_sdwa v50, v37, s13 dst_sel:DWORD dst_unused:UNUSED_PAD src0_sel:WORD_0 src1_sel:DWORD
	v_mul_u32_u24_sdwa v37, v37, s13 dst_sel:DWORD dst_unused:UNUSED_PAD src0_sel:WORD_1 src1_sel:DWORD
	v_mul_u32_u24_sdwa v51, v38, s13 dst_sel:DWORD dst_unused:UNUSED_PAD src0_sel:WORD_0 src1_sel:DWORD
	v_mul_u32_u24_sdwa v38, v38, s13 dst_sel:DWORD dst_unused:UNUSED_PAD src0_sel:WORD_1 src1_sel:DWORD
	v_pk_fma_f16 v45, v33, v50, v45
	v_pk_fma_f16 v46, v33, v37, v46
	v_pk_fma_f16 v47, v33, v51, v47
	v_pk_fma_f16 v33, v33, v38, v48
	v_pk_fma_f16 v44, v34, v50, v44
	v_pk_fma_f16 v37, v34, v37, v49
	v_pk_fma_f16 v7, v34, v51, v7
	v_pk_fma_f16 v6, v34, v38, v6
	v_mul_u32_u24_sdwa v34, v39, s13 dst_sel:DWORD dst_unused:UNUSED_PAD src0_sel:WORD_0 src1_sel:DWORD
	v_mul_u32_u24_sdwa v38, v39, s13 dst_sel:DWORD dst_unused:UNUSED_PAD src0_sel:WORD_1 src1_sel:DWORD
	v_mul_u32_u24_sdwa v39, v40, s13 dst_sel:DWORD dst_unused:UNUSED_PAD src0_sel:WORD_0 src1_sel:DWORD
	v_mul_u32_u24_sdwa v40, v40, s13 dst_sel:DWORD dst_unused:UNUSED_PAD src0_sel:WORD_1 src1_sel:DWORD
	v_pk_fma_f16 v45, v35, v34, v45
	v_pk_fma_f16 v46, v35, v38, v46
	v_pk_fma_f16 v47, v35, v39, v47
	v_pk_fma_f16 v48, v35, v40, v33
	v_pk_fma_f16 v44, v36, v34, v44
	v_pk_fma_f16 v49, v36, v38, v37
	v_pk_fma_f16 v7, v36, v39, v7
	v_pk_fma_f16 v6, v36, v40, v6
	ds_read2_b64 v[33:36], v32 offset0:128 offset1:160
	;; [unrolled: 27-line block ×3, first 2 shown]
	ds_read_b128 v[33:36], v24 offset:112
	s_waitcnt lgkmcnt(0)
	s_barrier
	v_mul_u32_u24_sdwa v50, v33, s13 dst_sel:DWORD dst_unused:UNUSED_PAD src0_sel:WORD_0 src1_sel:DWORD
	v_mul_u32_u24_sdwa v33, v33, s13 dst_sel:DWORD dst_unused:UNUSED_PAD src0_sel:WORD_1 src1_sel:DWORD
	v_mul_u32_u24_sdwa v51, v34, s13 dst_sel:DWORD dst_unused:UNUSED_PAD src0_sel:WORD_0 src1_sel:DWORD
	v_mul_u32_u24_sdwa v34, v34, s13 dst_sel:DWORD dst_unused:UNUSED_PAD src0_sel:WORD_1 src1_sel:DWORD
	v_pk_fma_f16 v45, v37, v50, v45
	v_pk_fma_f16 v46, v37, v33, v46
	;; [unrolled: 1-line block ×8, first 2 shown]
	v_mul_u32_u24_sdwa v38, v35, s13 dst_sel:DWORD dst_unused:UNUSED_PAD src0_sel:WORD_0 src1_sel:DWORD
	v_mul_u32_u24_sdwa v49, v35, s13 dst_sel:DWORD dst_unused:UNUSED_PAD src0_sel:WORD_1 src1_sel:DWORD
	v_mul_u32_u24_sdwa v50, v36, s13 dst_sel:DWORD dst_unused:UNUSED_PAD src0_sel:WORD_0 src1_sel:DWORD
	v_mul_u32_u24_sdwa v51, v36, s13 dst_sel:DWORD dst_unused:UNUSED_PAD src0_sel:WORD_1 src1_sel:DWORD
	v_pk_fma_f16 v33, v39, v38, v45
	v_pk_fma_f16 v34, v39, v49, v46
	;; [unrolled: 1-line block ×8, first 2 shown]
	v_add_co_u32_e32 v6, vcc, s14, v26
	v_mov_b32_e32 v7, s15
	v_addc_co_u32_e32 v7, vcc, v27, v7, vcc
	global_load_dwordx4 v[44:47], v[6:7], off
	s_waitcnt vmcnt(0)
	ds_write_b128 v25, v[44:47]
	s_waitcnt lgkmcnt(0)
	s_barrier
	ds_read2_b64 v[44:47], v31 offset1:32
	ds_read_b128 v[48:51], v24 offset:128
	ds_read_b128 v[52:55], v24 offset:144
	;; [unrolled: 1-line block ×4, first 2 shown]
	s_waitcnt lgkmcnt(3)
	v_mul_u32_u24_sdwa v6, v48, s13 dst_sel:DWORD dst_unused:UNUSED_PAD src0_sel:WORD_0 src1_sel:DWORD
	v_mul_u32_u24_sdwa v7, v48, s13 dst_sel:DWORD dst_unused:UNUSED_PAD src0_sel:WORD_1 src1_sel:DWORD
	v_mul_u32_u24_sdwa v48, v49, s13 dst_sel:DWORD dst_unused:UNUSED_PAD src0_sel:WORD_0 src1_sel:DWORD
	v_mul_u32_u24_sdwa v49, v49, s13 dst_sel:DWORD dst_unused:UNUSED_PAD src0_sel:WORD_1 src1_sel:DWORD
	v_pk_fma_f16 v33, v44, v6, v33
	v_pk_fma_f16 v34, v44, v7, v34
	v_pk_fma_f16 v35, v44, v48, v35
	v_pk_fma_f16 v36, v44, v49, v36
	v_pk_fma_f16 v6, v45, v6, v37
	v_pk_fma_f16 v7, v45, v7, v38
	v_pk_fma_f16 v37, v45, v48, v39
	v_pk_fma_f16 v38, v45, v49, v40
	v_mul_u32_u24_sdwa v39, v50, s13 dst_sel:DWORD dst_unused:UNUSED_PAD src0_sel:WORD_0 src1_sel:DWORD
	v_mul_u32_u24_sdwa v40, v50, s13 dst_sel:DWORD dst_unused:UNUSED_PAD src0_sel:WORD_1 src1_sel:DWORD
	v_mul_u32_u24_sdwa v44, v51, s13 dst_sel:DWORD dst_unused:UNUSED_PAD src0_sel:WORD_0 src1_sel:DWORD
	v_mul_u32_u24_sdwa v45, v51, s13 dst_sel:DWORD dst_unused:UNUSED_PAD src0_sel:WORD_1 src1_sel:DWORD
	v_pk_fma_f16 v48, v46, v39, v33
	v_pk_fma_f16 v49, v46, v40, v34
	;; [unrolled: 1-line block ×4, first 2 shown]
	ds_read2_b64 v[33:36], v31 offset0:64 offset1:96
	v_pk_fma_f16 v6, v47, v39, v6
	v_pk_fma_f16 v7, v47, v40, v7
	v_pk_fma_f16 v37, v47, v44, v37
	v_pk_fma_f16 v38, v47, v45, v38
	s_waitcnt lgkmcnt(3)
	v_mul_u32_u24_sdwa v39, v52, s13 dst_sel:DWORD dst_unused:UNUSED_PAD src0_sel:WORD_0 src1_sel:DWORD
	v_mul_u32_u24_sdwa v40, v52, s13 dst_sel:DWORD dst_unused:UNUSED_PAD src0_sel:WORD_1 src1_sel:DWORD
	v_mul_u32_u24_sdwa v44, v53, s13 dst_sel:DWORD dst_unused:UNUSED_PAD src0_sel:WORD_0 src1_sel:DWORD
	v_mul_u32_u24_sdwa v45, v53, s13 dst_sel:DWORD dst_unused:UNUSED_PAD src0_sel:WORD_1 src1_sel:DWORD
	s_waitcnt lgkmcnt(0)
	v_pk_fma_f16 v47, v33, v39, v48
	v_pk_fma_f16 v48, v33, v40, v49
	v_pk_fma_f16 v49, v33, v44, v50
	v_pk_fma_f16 v33, v33, v45, v46
	v_pk_fma_f16 v6, v34, v39, v6
	v_pk_fma_f16 v7, v34, v40, v7
	v_pk_fma_f16 v37, v34, v44, v37
	v_pk_fma_f16 v34, v34, v45, v38
	v_mul_u32_u24_sdwa v38, v54, s13 dst_sel:DWORD dst_unused:UNUSED_PAD src0_sel:WORD_0 src1_sel:DWORD
	v_mul_u32_u24_sdwa v39, v54, s13 dst_sel:DWORD dst_unused:UNUSED_PAD src0_sel:WORD_1 src1_sel:DWORD
	v_mul_u32_u24_sdwa v40, v55, s13 dst_sel:DWORD dst_unused:UNUSED_PAD src0_sel:WORD_0 src1_sel:DWORD
	v_mul_u32_u24_sdwa v44, v55, s13 dst_sel:DWORD dst_unused:UNUSED_PAD src0_sel:WORD_1 src1_sel:DWORD
	v_pk_fma_f16 v45, v35, v38, v47
	v_pk_fma_f16 v46, v35, v39, v48
	;; [unrolled: 1-line block ×8, first 2 shown]
	ds_read2_b64 v[33:36], v31 offset0:128 offset1:160
	v_mul_u32_u24_sdwa v39, v56, s13 dst_sel:DWORD dst_unused:UNUSED_PAD src0_sel:WORD_0 src1_sel:DWORD
	v_mul_u32_u24_sdwa v40, v56, s13 dst_sel:DWORD dst_unused:UNUSED_PAD src0_sel:WORD_1 src1_sel:DWORD
	v_mul_u32_u24_sdwa v44, v57, s13 dst_sel:DWORD dst_unused:UNUSED_PAD src0_sel:WORD_0 src1_sel:DWORD
	v_mul_u32_u24_sdwa v49, v57, s13 dst_sel:DWORD dst_unused:UNUSED_PAD src0_sel:WORD_1 src1_sel:DWORD
	s_waitcnt lgkmcnt(0)
	v_pk_fma_f16 v45, v33, v39, v45
	v_pk_fma_f16 v46, v33, v40, v46
	;; [unrolled: 1-line block ×8, first 2 shown]
	v_mul_u32_u24_sdwa v38, v58, s13 dst_sel:DWORD dst_unused:UNUSED_PAD src0_sel:WORD_0 src1_sel:DWORD
	v_mul_u32_u24_sdwa v39, v58, s13 dst_sel:DWORD dst_unused:UNUSED_PAD src0_sel:WORD_1 src1_sel:DWORD
	v_mul_u32_u24_sdwa v40, v59, s13 dst_sel:DWORD dst_unused:UNUSED_PAD src0_sel:WORD_0 src1_sel:DWORD
	v_mul_u32_u24_sdwa v44, v59, s13 dst_sel:DWORD dst_unused:UNUSED_PAD src0_sel:WORD_1 src1_sel:DWORD
	v_pk_fma_f16 v45, v35, v38, v45
	v_pk_fma_f16 v46, v35, v39, v46
	;; [unrolled: 1-line block ×8, first 2 shown]
	ds_read2_b64 v[33:36], v31 offset0:192 offset1:224
	v_mul_u32_u24_sdwa v39, v60, s13 dst_sel:DWORD dst_unused:UNUSED_PAD src0_sel:WORD_0 src1_sel:DWORD
	v_mul_u32_u24_sdwa v40, v60, s13 dst_sel:DWORD dst_unused:UNUSED_PAD src0_sel:WORD_1 src1_sel:DWORD
	v_mul_u32_u24_sdwa v44, v61, s13 dst_sel:DWORD dst_unused:UNUSED_PAD src0_sel:WORD_0 src1_sel:DWORD
	v_mul_u32_u24_sdwa v49, v61, s13 dst_sel:DWORD dst_unused:UNUSED_PAD src0_sel:WORD_1 src1_sel:DWORD
	s_waitcnt lgkmcnt(0)
	v_pk_fma_f16 v45, v33, v39, v45
	v_pk_fma_f16 v46, v33, v40, v46
	;; [unrolled: 1-line block ×8, first 2 shown]
	v_mul_u32_u24_sdwa v38, v62, s13 dst_sel:DWORD dst_unused:UNUSED_PAD src0_sel:WORD_0 src1_sel:DWORD
	v_mul_u32_u24_sdwa v39, v62, s13 dst_sel:DWORD dst_unused:UNUSED_PAD src0_sel:WORD_1 src1_sel:DWORD
	v_mul_u32_u24_sdwa v40, v63, s13 dst_sel:DWORD dst_unused:UNUSED_PAD src0_sel:WORD_0 src1_sel:DWORD
	v_mul_u32_u24_sdwa v44, v63, s13 dst_sel:DWORD dst_unused:UNUSED_PAD src0_sel:WORD_1 src1_sel:DWORD
	v_pk_fma_f16 v45, v35, v38, v45
	v_pk_fma_f16 v46, v35, v39, v46
	;; [unrolled: 1-line block ×8, first 2 shown]
	ds_read2_b64 v[33:36], v32 offset1:32
	ds_read_b128 v[37:40], v24 offset:192
	s_waitcnt lgkmcnt(0)
	v_mul_u32_u24_sdwa v50, v37, s13 dst_sel:DWORD dst_unused:UNUSED_PAD src0_sel:WORD_0 src1_sel:DWORD
	v_mul_u32_u24_sdwa v37, v37, s13 dst_sel:DWORD dst_unused:UNUSED_PAD src0_sel:WORD_1 src1_sel:DWORD
	v_mul_u32_u24_sdwa v51, v38, s13 dst_sel:DWORD dst_unused:UNUSED_PAD src0_sel:WORD_0 src1_sel:DWORD
	v_mul_u32_u24_sdwa v38, v38, s13 dst_sel:DWORD dst_unused:UNUSED_PAD src0_sel:WORD_1 src1_sel:DWORD
	v_pk_fma_f16 v45, v33, v50, v45
	v_pk_fma_f16 v46, v33, v37, v46
	v_pk_fma_f16 v47, v33, v51, v47
	v_pk_fma_f16 v33, v33, v38, v48
	v_pk_fma_f16 v6, v34, v50, v6
	v_pk_fma_f16 v7, v34, v37, v7
	v_pk_fma_f16 v37, v34, v51, v49
	v_pk_fma_f16 v34, v34, v38, v44
	v_mul_u32_u24_sdwa v38, v39, s13 dst_sel:DWORD dst_unused:UNUSED_PAD src0_sel:WORD_0 src1_sel:DWORD
	v_mul_u32_u24_sdwa v39, v39, s13 dst_sel:DWORD dst_unused:UNUSED_PAD src0_sel:WORD_1 src1_sel:DWORD
	v_mul_u32_u24_sdwa v44, v40, s13 dst_sel:DWORD dst_unused:UNUSED_PAD src0_sel:WORD_0 src1_sel:DWORD
	v_mul_u32_u24_sdwa v40, v40, s13 dst_sel:DWORD dst_unused:UNUSED_PAD src0_sel:WORD_1 src1_sel:DWORD
	v_pk_fma_f16 v45, v35, v38, v45
	v_pk_fma_f16 v46, v35, v39, v46
	v_pk_fma_f16 v47, v35, v44, v47
	v_pk_fma_f16 v48, v35, v40, v33
	v_pk_fma_f16 v6, v36, v38, v6
	v_pk_fma_f16 v7, v36, v39, v7
	v_pk_fma_f16 v44, v36, v44, v37
	v_pk_fma_f16 v49, v36, v40, v34
	ds_read2_b64 v[33:36], v32 offset0:64 offset1:96
	ds_read_b128 v[37:40], v24 offset:208
	s_waitcnt lgkmcnt(0)
	v_mul_u32_u24_sdwa v50, v37, s13 dst_sel:DWORD dst_unused:UNUSED_PAD src0_sel:WORD_0 src1_sel:DWORD
	v_mul_u32_u24_sdwa v37, v37, s13 dst_sel:DWORD dst_unused:UNUSED_PAD src0_sel:WORD_1 src1_sel:DWORD
	v_mul_u32_u24_sdwa v51, v38, s13 dst_sel:DWORD dst_unused:UNUSED_PAD src0_sel:WORD_0 src1_sel:DWORD
	v_mul_u32_u24_sdwa v38, v38, s13 dst_sel:DWORD dst_unused:UNUSED_PAD src0_sel:WORD_1 src1_sel:DWORD
	v_pk_fma_f16 v45, v33, v50, v45
	v_pk_fma_f16 v46, v33, v37, v46
	v_pk_fma_f16 v47, v33, v51, v47
	v_pk_fma_f16 v33, v33, v38, v48
	v_pk_fma_f16 v6, v34, v50, v6
	v_pk_fma_f16 v7, v34, v37, v7
	v_pk_fma_f16 v37, v34, v51, v44
	v_pk_fma_f16 v34, v34, v38, v49
	v_mul_u32_u24_sdwa v38, v39, s13 dst_sel:DWORD dst_unused:UNUSED_PAD src0_sel:WORD_0 src1_sel:DWORD
	v_mul_u32_u24_sdwa v39, v39, s13 dst_sel:DWORD dst_unused:UNUSED_PAD src0_sel:WORD_1 src1_sel:DWORD
	v_mul_u32_u24_sdwa v44, v40, s13 dst_sel:DWORD dst_unused:UNUSED_PAD src0_sel:WORD_0 src1_sel:DWORD
	v_mul_u32_u24_sdwa v40, v40, s13 dst_sel:DWORD dst_unused:UNUSED_PAD src0_sel:WORD_1 src1_sel:DWORD
	v_pk_fma_f16 v45, v35, v38, v45
	v_pk_fma_f16 v46, v35, v39, v46
	v_pk_fma_f16 v47, v35, v44, v47
	v_pk_fma_f16 v48, v35, v40, v33
	v_pk_fma_f16 v6, v36, v38, v6
	v_pk_fma_f16 v7, v36, v39, v7
	v_pk_fma_f16 v44, v36, v44, v37
	v_pk_fma_f16 v49, v36, v40, v34
	ds_read2_b64 v[33:36], v32 offset0:128 offset1:160
	;; [unrolled: 27-line block ×3, first 2 shown]
	ds_read_b128 v[33:36], v24 offset:240
	s_waitcnt lgkmcnt(0)
	s_barrier
	s_load_dword s14, s[0:1], 0x4
	v_mul_u32_u24_sdwa v39, v33, s13 dst_sel:DWORD dst_unused:UNUSED_PAD src0_sel:WORD_0 src1_sel:DWORD
	v_mul_u32_u24_sdwa v33, v33, s13 dst_sel:DWORD dst_unused:UNUSED_PAD src0_sel:WORD_1 src1_sel:DWORD
	v_mul_u32_u24_sdwa v40, v34, s13 dst_sel:DWORD dst_unused:UNUSED_PAD src0_sel:WORD_0 src1_sel:DWORD
	v_mul_u32_u24_sdwa v34, v34, s13 dst_sel:DWORD dst_unused:UNUSED_PAD src0_sel:WORD_1 src1_sel:DWORD
	s_waitcnt lgkmcnt(0)
	s_lshl_b32 s14, s14, 5
	v_pk_fma_f16 v48, v44, v39, v48
	v_pk_fma_f16 v49, v44, v33, v49
	;; [unrolled: 1-line block ×8, first 2 shown]
	v_mul_u32_u24_sdwa v38, v35, s13 dst_sel:DWORD dst_unused:UNUSED_PAD src0_sel:WORD_0 src1_sel:DWORD
	v_mul_u32_u24_sdwa v39, v35, s13 dst_sel:DWORD dst_unused:UNUSED_PAD src0_sel:WORD_1 src1_sel:DWORD
	v_mul_u32_u24_sdwa v52, v36, s13 dst_sel:DWORD dst_unused:UNUSED_PAD src0_sel:WORD_0 src1_sel:DWORD
	v_mul_u32_u24_sdwa v36, v36, s13 dst_sel:DWORD dst_unused:UNUSED_PAD src0_sel:WORD_1 src1_sel:DWORD
	s_add_i32 s6, s14, s6
	v_pk_fma_f16 v35, v46, v38, v48
	v_pk_fma_f16 v34, v46, v39, v49
	;; [unrolled: 1-line block ×8, first 2 shown]
	s_cmp_ge_i32 s6, s24
	s_cbranch_scc0 .LBB0_17
.LBB0_18:
	v_cmp_lt_i32_e32 vcc, v18, v10
	v_cndmask_b32_e32 v5, v9, v18, vcc
	v_cmp_lt_i32_e32 vcc, v17, v10
	v_cndmask_b32_e32 v7, v9, v17, vcc
	;; [unrolled: 2-line block ×3, first 2 shown]
	v_cmp_lt_i32_e32 vcc, v11, v10
	v_lshlrev_b32_e32 v5, 2, v5
	v_cndmask_b32_e32 v11, v9, v11, vcc
	v_cmp_lt_i32_e32 vcc, v12, v10
	ds_bpermute_b32 v6, v5, v41
	v_cndmask_b32_e32 v9, v9, v12, vcc
	v_lshlrev_b32_e32 v10, 2, v11
	ds_bpermute_b32 v11, v5, v42
	ds_bpermute_b32 v12, v5, v43
	ds_bpermute_b32 v5, v5, v19
	v_lshlrev_b32_e32 v7, 2, v7
	s_waitcnt lgkmcnt(3)
	v_add_f32_e32 v6, v41, v6
	s_waitcnt lgkmcnt(2)
	v_add_f32_e32 v11, v42, v11
	s_waitcnt lgkmcnt(1)
	v_add_f32_e32 v12, v43, v12
	s_waitcnt lgkmcnt(0)
	v_add_f32_e32 v5, v19, v5
	ds_bpermute_b32 v8, v7, v6
	ds_bpermute_b32 v17, v7, v11
	ds_bpermute_b32 v18, v7, v12
	ds_bpermute_b32 v7, v7, v5
	v_lshlrev_b32_e32 v16, 2, v16
	s_waitcnt lgkmcnt(3)
	v_add_f32_e32 v6, v6, v8
	s_waitcnt lgkmcnt(2)
	v_add_f32_e32 v11, v11, v17
	s_waitcnt lgkmcnt(1)
	v_add_f32_e32 v12, v12, v18
	s_waitcnt lgkmcnt(0)
	v_add_f32_e32 v5, v5, v7
	ds_bpermute_b32 v8, v16, v6
	;; [unrolled: 13-line block ×3, first 2 shown]
	ds_bpermute_b32 v16, v10, v11
	ds_bpermute_b32 v17, v10, v12
	;; [unrolled: 1-line block ×3, first 2 shown]
	s_cmp_lg_u64 s[16:17], 0
	s_waitcnt lgkmcnt(3)
	v_add_f32_e32 v6, v6, v8
	s_waitcnt lgkmcnt(2)
	v_add_f32_e32 v10, v11, v16
	;; [unrolled: 2-line block ×4, first 2 shown]
	ds_bpermute_b32 v8, v9, v6
	ds_bpermute_b32 v11, v9, v10
	;; [unrolled: 1-line block ×4, first 2 shown]
	s_cselect_b64 s[0:1], -1, 0
	s_cmp_eq_u32 s7, 0
	s_cselect_b64 s[8:9], -1, 0
	s_and_b64 s[0:1], s[8:9], s[0:1]
	s_waitcnt lgkmcnt(3)
	v_add_f32_e32 v5, v6, v8
	s_waitcnt lgkmcnt(2)
	v_add_f32_e32 v6, v10, v11
	;; [unrolled: 2-line block ×4, first 2 shown]
	s_and_b64 vcc, exec, s[0:1]
	s_cbranch_vccz .LBB0_21
; %bb.19:
	v_add_u32_e32 v9, s25, v14
	v_ashrrev_i32_e32 v10, 31, v9
	v_lshlrev_b64 v[9:10], 2, v[9:10]
	v_mov_b32_e32 v11, s17
	v_add_co_u32_e32 v9, vcc, s16, v9
	v_addc_co_u32_e32 v10, vcc, v11, v10, vcc
	global_load_dwordx4 v[9:12], v[9:10], off
	v_max_f32_e32 v16, v1, v1
	v_max_f32_e32 v17, v2, v2
	s_mov_b32 s6, 0x3fb8aa3b
	v_max_f32_e32 v18, v3, v3
	s_mov_b32 s1, 0xc2ce8ed0
	s_mov_b32 s0, 0x42b17218
	v_mov_b32_e32 v20, 0x7f800000
	s_waitcnt vmcnt(0)
	v_max_f32_e32 v19, v9, v9
	v_max_f32_e32 v16, v16, v19
	;; [unrolled: 1-line block ×3, first 2 shown]
	v_sub_f32_e32 v1, v1, v16
	v_max_f32_e32 v17, v17, v21
	v_sub_f32_e32 v9, v9, v16
	v_mul_f32_e32 v19, 0x3fb8aa3b, v1
	v_max_f32_e32 v22, v11, v11
	v_sub_f32_e32 v2, v2, v17
	v_mul_f32_e32 v21, 0x3fb8aa3b, v9
	v_fma_f32 v26, v1, s6, -v19
	v_rndne_f32_e32 v27, v19
	v_max_f32_e32 v18, v18, v22
	v_sub_f32_e32 v10, v10, v17
	v_mul_f32_e32 v22, 0x3fb8aa3b, v2
	v_fma_f32 v28, v9, s6, -v21
	v_rndne_f32_e32 v29, v21
	v_fmac_f32_e32 v26, 0x32a5705f, v1
	v_sub_f32_e32 v19, v19, v27
	v_mul_f32_e32 v23, 0x3fb8aa3b, v10
	v_fma_f32 v30, v2, s6, -v22
	v_rndne_f32_e32 v31, v22
	v_fmac_f32_e32 v28, 0x32a5705f, v9
	v_sub_f32_e32 v21, v21, v29
	v_add_f32_e32 v19, v19, v26
	v_fma_f32 v32, v10, s6, -v23
	v_rndne_f32_e32 v41, v23
	v_cvt_i32_f32_e32 v27, v27
	v_fmac_f32_e32 v30, 0x32a5705f, v2
	v_sub_f32_e32 v22, v22, v31
	v_add_f32_e32 v21, v21, v28
	v_exp_f32_e32 v19, v19
	v_cvt_i32_f32_e32 v29, v29
	v_fmac_f32_e32 v32, 0x32a5705f, v10
	v_sub_f32_e32 v23, v23, v41
	v_add_f32_e32 v22, v22, v30
	v_exp_f32_e32 v21, v21
	v_cvt_i32_f32_e32 v31, v31
	v_add_f32_e32 v23, v23, v32
	v_exp_f32_e32 v22, v22
	v_cvt_i32_f32_e32 v41, v41
	v_exp_f32_e32 v23, v23
	v_ldexp_f32 v19, v19, v27
	v_cmp_ngt_f32_e32 vcc, s1, v1
	v_ldexp_f32 v21, v21, v29
	v_cndmask_b32_e32 v19, 0, v19, vcc
	v_cmp_ngt_f32_e32 vcc, s1, v9
	v_ldexp_f32 v22, v22, v31
	v_cndmask_b32_e32 v21, 0, v21, vcc
	;; [unrolled: 3-line block ×3, first 2 shown]
	v_cmp_ngt_f32_e32 vcc, s1, v10
	v_cndmask_b32_e32 v23, 0, v23, vcc
	v_cmp_nlt_f32_e32 vcc, s0, v1
	v_cndmask_b32_e32 v1, v20, v19, vcc
	v_cmp_nlt_f32_e32 vcc, s0, v9
	v_sub_f32_e32 v3, v3, v18
	v_cndmask_b32_e32 v9, v20, v21, vcc
	v_cmp_nlt_f32_e32 vcc, s0, v2
	v_mul_f32_e32 v24, 0x3fb8aa3b, v3
	v_cndmask_b32_e32 v2, v20, v22, vcc
	v_sub_f32_e32 v11, v11, v18
	v_fma_f32 v42, v3, s6, -v24
	v_rndne_f32_e32 v43, v24
	v_cvt_f16_f32_e32 v19, v1
	v_cvt_f16_f32_e32 v21, v2
	v_mul_f32_e32 v25, 0x3fb8aa3b, v11
	v_fmac_f32_e32 v42, 0x32a5705f, v3
	v_sub_f32_e32 v24, v24, v43
	v_fma_f32 v44, v11, s6, -v25
	v_rndne_f32_e32 v45, v25
	v_add_f32_e32 v24, v24, v42
	v_cmp_nlt_f32_e32 vcc, s0, v10
	v_cvt_i32_f32_e32 v43, v43
	v_fmac_f32_e32 v44, 0x32a5705f, v11
	v_sub_f32_e32 v25, v25, v45
	v_exp_f32_e32 v24, v24
	v_cndmask_b32_e32 v10, v20, v23, vcc
	v_add_f32_e32 v25, v25, v44
	v_fmac_f32_e32 v9, v5, v1
	v_fmac_f32_e32 v10, v6, v2
	v_mul_u32_u24_e32 v1, 0x10001, v19
	v_mul_u32_u24_e32 v2, 0x10001, v21
	v_pk_mul_f16 v35, v35, v1
	v_pk_mul_f16 v40, v40, v1
	;; [unrolled: 1-line block ×4, first 2 shown]
	v_exp_f32_e32 v1, v25
	v_cvt_i32_f32_e32 v2, v45
	v_ldexp_f32 v24, v24, v43
	v_cmp_ngt_f32_e32 vcc, s1, v3
	v_cndmask_b32_e32 v5, 0, v24, vcc
	v_cmp_nlt_f32_e32 vcc, s0, v3
	v_cndmask_b32_e32 v3, v20, v5, vcc
	v_ldexp_f32 v1, v1, v2
	v_cmp_ngt_f32_e32 vcc, s1, v11
	v_cndmask_b32_e32 v1, 0, v1, vcc
	v_cmp_nlt_f32_e32 vcc, s0, v11
	v_cndmask_b32_e32 v11, v20, v1, vcc
	v_fmac_f32_e32 v11, v7, v3
	v_cvt_f16_f32_e32 v1, v3
	v_max_f32_e32 v2, v12, v12
	v_max_f32_e32 v3, v4, v4
	;; [unrolled: 1-line block ×3, first 2 shown]
	v_sub_f32_e32 v2, v4, v19
	v_mul_f32_e32 v3, 0x3fb8aa3b, v2
	v_fma_f32 v4, v2, s6, -v3
	v_rndne_f32_e32 v5, v3
	v_fmac_f32_e32 v4, 0x32a5705f, v2
	v_sub_f32_e32 v3, v3, v5
	v_add_f32_e32 v3, v3, v4
	v_exp_f32_e32 v3, v3
	v_cvt_i32_f32_e32 v4, v5
	v_mul_u32_u24_e32 v1, 0x10001, v1
	v_pk_mul_f16 v33, v33, v1
	v_pk_mul_f16 v38, v38, v1
	v_ldexp_f32 v1, v3, v4
	v_sub_f32_e32 v3, v12, v19
	v_mul_f32_e32 v4, 0x3fb8aa3b, v3
	v_fma_f32 v5, v3, s6, -v4
	v_rndne_f32_e32 v6, v4
	v_fmac_f32_e32 v5, 0x32a5705f, v3
	v_sub_f32_e32 v4, v4, v6
	v_add_f32_e32 v4, v4, v5
	v_exp_f32_e32 v4, v4
	v_cvt_i32_f32_e32 v5, v6
	v_cmp_ngt_f32_e32 vcc, s1, v2
	v_cndmask_b32_e32 v1, 0, v1, vcc
	v_cmp_nlt_f32_e32 vcc, s0, v2
	v_cndmask_b32_e32 v1, v20, v1, vcc
	v_ldexp_f32 v2, v4, v5
	v_cvt_f16_f32_e32 v4, v1
	v_cmp_ngt_f32_e32 vcc, s1, v3
	v_cndmask_b32_e32 v2, 0, v2, vcc
	v_cmp_nlt_f32_e32 vcc, s0, v3
	v_cndmask_b32_e32 v12, v20, v2, vcc
	v_fmac_f32_e32 v12, v8, v1
	v_mul_u32_u24_e32 v1, 0x10001, v4
	v_pk_mul_f16 v37, v37, v1
	v_pk_mul_f16 v36, v36, v1
	v_mov_b32_e32 v1, v16
	v_mov_b32_e32 v2, v17
	;; [unrolled: 1-line block ×8, first 2 shown]
	v_cmp_gt_i32_e32 vcc, s2, v13
	s_and_saveexec_b64 s[0:1], vcc
	s_cbranch_execnz .LBB0_22
.LBB0_20:
	s_endpgm
.LBB0_21:
	v_mov_b32_e32 v12, v8
	v_mov_b32_e32 v11, v7
	v_mov_b32_e32 v10, v6
	v_mov_b32_e32 v9, v5
	v_cmp_gt_i32_e32 vcc, s2, v13
	s_and_saveexec_b64 s[0:1], vcc
	s_cbranch_execz .LBB0_20
.LBB0_22:
	s_load_dword s6, s[4:5], 0xd4
	v_mov_b32_e32 v16, 1.0
	s_waitcnt lgkmcnt(0)
	s_cmp_lg_u32 s6, 1
	s_cselect_b64 s[0:1], -1, 0
	s_cmp_eq_u32 s6, 1
	s_cselect_b64 s[4:5], -1, 0
	s_and_b64 vcc, exec, s[0:1]
	s_cbranch_vccnz .LBB0_24
; %bb.23:
	v_div_scale_f32 v16, s[8:9], v5, v5, 1.0
	v_div_scale_f32 v17, vcc, 1.0, v5, 1.0
	v_rcp_f32_e32 v18, v16
	v_fma_f32 v19, -v16, v18, 1.0
	v_fmac_f32_e32 v18, v19, v18
	v_mul_f32_e32 v19, v17, v18
	v_fma_f32 v20, -v16, v19, v17
	v_fmac_f32_e32 v19, v20, v18
	v_fma_f32 v16, -v16, v19, v17
	v_div_fmas_f32 v16, v16, v18, v19
	v_div_fixup_f32 v16, v16, v5, 1.0
.LBB0_24:
	s_mul_i32 s30, s30, s2
	v_add_u32_e32 v5, s30, v13
	v_mul_lo_u32 v5, v5, s3
	v_cmp_eq_u32_e32 vcc, 0, v0
	v_cvt_f32_f16_e32 v0, v35
	v_mov_b32_e32 v22, 0
	v_add3_u32 v5, s25, v14, v5
	v_mul_lo_u32 v5, s6, v5
	v_cvt_f32_f16_sdwa v14, v35 dst_sel:DWORD dst_unused:UNUSED_PAD src0_sel:WORD_1
	v_cvt_f32_f16_e32 v19, v40
	s_and_b64 s[2:3], vcc, s[0:1]
	v_add_u32_e32 v13, s7, v5
	v_lshl_add_u32 v21, v13, 7, v15
	v_cvt_f32_f16_sdwa v5, v40 dst_sel:DWORD dst_unused:UNUSED_PAD src0_sel:WORD_1
	v_lshlrev_b64 v[21:22], 2, v[21:22]
	v_mul_f32_e32 v17, v16, v0
	v_mov_b32_e32 v0, s21
	v_add_co_u32_e32 v21, vcc, s20, v21
	v_mul_f32_e32 v18, v16, v14
	v_mul_f32_e32 v19, v16, v19
	;; [unrolled: 1-line block ×3, first 2 shown]
	v_addc_co_u32_e32 v22, vcc, v0, v22, vcc
	global_store_dwordx4 v[21:22], v[17:20], off
	s_and_saveexec_b64 s[0:1], s[2:3]
	s_cbranch_execz .LBB0_26
; %bb.25:
	v_ashrrev_i32_e32 v14, 31, v13
	v_lshlrev_b64 v[16:17], 3, v[13:14]
	v_mov_b32_e32 v0, s23
	v_add_co_u32_e32 v16, vcc, s22, v16
	v_addc_co_u32_e32 v17, vcc, v0, v17, vcc
	v_mov_b32_e32 v0, v1
	v_mov_b32_e32 v1, v9
	global_store_dwordx2 v[16:17], v[0:1], off
.LBB0_26:
	s_or_b64 exec, exec, s[0:1]
	v_cndmask_b32_e64 v0, 0, 1, s[4:5]
	v_cmp_ne_u32_e64 s[0:1], 1, v0
	s_andn2_b64 vcc, exec, s[4:5]
	v_mov_b32_e32 v1, 1.0
	s_cbranch_vccnz .LBB0_28
; %bb.27:
	v_div_scale_f32 v0, s[4:5], v6, v6, 1.0
	v_div_scale_f32 v1, vcc, 1.0, v6, 1.0
	v_rcp_f32_e32 v5, v0
	v_fma_f32 v9, -v0, v5, 1.0
	v_fmac_f32_e32 v5, v9, v5
	v_mul_f32_e32 v9, v1, v5
	v_fma_f32 v14, -v0, v9, v1
	v_fmac_f32_e32 v9, v14, v5
	v_fma_f32 v0, -v0, v9, v1
	v_div_fmas_f32 v0, v0, v5, v9
	v_div_fixup_f32 v1, v0, v6, 1.0
.LBB0_28:
	v_add_u32_e32 v0, s6, v13
	v_cvt_f32_f16_e32 v9, v34
	v_cvt_f32_f16_sdwa v13, v34 dst_sel:DWORD dst_unused:UNUSED_PAD src0_sel:WORD_1
	v_cvt_f32_f16_e32 v14, v39
	v_cvt_f32_f16_sdwa v19, v39 dst_sel:DWORD dst_unused:UNUSED_PAD src0_sel:WORD_1
	v_lshl_add_u32 v5, v0, 7, v15
	v_mov_b32_e32 v6, 0
	v_lshlrev_b64 v[5:6], 2, v[5:6]
	v_mul_f32_e32 v16, v1, v9
	v_mul_f32_e32 v17, v1, v13
	;; [unrolled: 1-line block ×4, first 2 shown]
	v_mov_b32_e32 v1, s21
	v_add_co_u32_e32 v5, vcc, s20, v5
	v_addc_co_u32_e32 v6, vcc, v1, v6, vcc
	global_store_dwordx4 v[5:6], v[16:19], off
	s_and_saveexec_b64 s[4:5], s[2:3]
	s_cbranch_execz .LBB0_30
; %bb.29:
	v_ashrrev_i32_e32 v1, 31, v0
	v_lshlrev_b64 v[5:6], 3, v[0:1]
	v_mov_b32_e32 v1, s23
	v_add_co_u32_e32 v5, vcc, s22, v5
	v_addc_co_u32_e32 v6, vcc, v1, v6, vcc
	v_mov_b32_e32 v9, v2
	global_store_dwordx2 v[5:6], v[9:10], off
.LBB0_30:
	s_or_b64 exec, exec, s[4:5]
	s_and_b64 vcc, exec, s[0:1]
	v_mov_b32_e32 v1, 1.0
	s_cbranch_vccnz .LBB0_32
; %bb.31:
	v_div_scale_f32 v1, s[4:5], v7, v7, 1.0
	v_div_scale_f32 v2, vcc, 1.0, v7, 1.0
	v_rcp_f32_e32 v5, v1
	v_fma_f32 v6, -v1, v5, 1.0
	v_fmac_f32_e32 v5, v6, v5
	v_mul_f32_e32 v6, v2, v5
	v_fma_f32 v9, -v1, v6, v2
	v_fmac_f32_e32 v6, v9, v5
	v_fma_f32 v1, -v1, v6, v2
	v_div_fmas_f32 v1, v1, v5, v6
	v_div_fixup_f32 v1, v1, v7, 1.0
.LBB0_32:
	v_cvt_f32_f16_e32 v2, v33
	v_cvt_f32_f16_sdwa v7, v33 dst_sel:DWORD dst_unused:UNUSED_PAD src0_sel:WORD_1
	v_cvt_f32_f16_e32 v9, v38
	v_cvt_f32_f16_sdwa v10, v38 dst_sel:DWORD dst_unused:UNUSED_PAD src0_sel:WORD_1
	v_add_u32_e32 v0, s6, v0
	v_lshl_add_u32 v5, v0, 7, v15
	v_mov_b32_e32 v6, 0
	v_mul_f32_e32 v16, v1, v2
	v_mul_f32_e32 v17, v1, v7
	;; [unrolled: 1-line block ×4, first 2 shown]
	v_lshlrev_b64 v[1:2], 2, v[5:6]
	v_mov_b32_e32 v5, s21
	v_add_co_u32_e32 v1, vcc, s20, v1
	v_addc_co_u32_e32 v2, vcc, v5, v2, vcc
	global_store_dwordx4 v[1:2], v[16:19], off
	s_and_saveexec_b64 s[4:5], s[2:3]
	s_cbranch_execz .LBB0_34
; %bb.33:
	v_ashrrev_i32_e32 v1, 31, v0
	v_lshlrev_b64 v[1:2], 3, v[0:1]
	v_mov_b32_e32 v5, s23
	v_add_co_u32_e32 v1, vcc, s22, v1
	v_addc_co_u32_e32 v2, vcc, v5, v2, vcc
	v_mov_b32_e32 v10, v3
	global_store_dwordx2 v[1:2], v[10:11], off
.LBB0_34:
	s_or_b64 exec, exec, s[4:5]
	s_and_b64 vcc, exec, s[0:1]
	v_mov_b32_e32 v1, 1.0
	s_cbranch_vccnz .LBB0_36
; %bb.35:
	v_div_scale_f32 v1, s[0:1], v8, v8, 1.0
	v_div_scale_f32 v2, vcc, 1.0, v8, 1.0
	v_rcp_f32_e32 v3, v1
	v_fma_f32 v5, -v1, v3, 1.0
	v_fmac_f32_e32 v3, v5, v3
	v_mul_f32_e32 v5, v2, v3
	v_fma_f32 v6, -v1, v5, v2
	v_fmac_f32_e32 v5, v6, v3
	v_fma_f32 v1, -v1, v5, v2
	v_div_fmas_f32 v1, v1, v3, v5
	v_div_fixup_f32 v1, v1, v8, 1.0
.LBB0_36:
	v_cvt_f32_f16_e32 v5, v37
	v_cvt_f32_f16_sdwa v6, v37 dst_sel:DWORD dst_unused:UNUSED_PAD src0_sel:WORD_1
	v_cvt_f32_f16_e32 v7, v36
	v_cvt_f32_f16_sdwa v8, v36 dst_sel:DWORD dst_unused:UNUSED_PAD src0_sel:WORD_1
	v_add_u32_e32 v0, s6, v0
	v_lshl_add_u32 v2, v0, 7, v15
	v_mov_b32_e32 v3, 0
	v_mul_f32_e32 v5, v1, v5
	v_mul_f32_e32 v6, v1, v6
	;; [unrolled: 1-line block ×4, first 2 shown]
	v_lshlrev_b64 v[1:2], 2, v[2:3]
	v_mov_b32_e32 v3, s21
	v_add_co_u32_e32 v1, vcc, s20, v1
	v_addc_co_u32_e32 v2, vcc, v3, v2, vcc
	global_store_dwordx4 v[1:2], v[5:8], off
	s_and_b64 exec, exec, s[2:3]
	s_cbranch_execz .LBB0_20
; %bb.37:
	v_ashrrev_i32_e32 v1, 31, v0
	v_lshlrev_b64 v[0:1], 3, v[0:1]
	v_mov_b32_e32 v2, s23
	v_add_co_u32_e32 v0, vcc, s22, v0
	v_addc_co_u32_e32 v1, vcc, v2, v1, vcc
	v_mov_b32_e32 v11, v4
	global_store_dwordx2 v[0:1], v[11:12], off
	s_endpgm
	.section	.rodata,"a",@progbits
	.p2align	6, 0x0
	.amdhsa_kernel _ZL15flash_attn_tileILi192ELi128ELi2ELi16ELb0EEvPKcS1_S1_S1_S1_PKiPfP15HIP_vector_typeIfLj2EEffffjfiS5_IjLj3EEiiiiiiiiiiiliiliiiiil
		.amdhsa_group_segment_fixed_size 18944
		.amdhsa_private_segment_fixed_size 0
		.amdhsa_kernarg_size 464
		.amdhsa_user_sgpr_count 6
		.amdhsa_user_sgpr_private_segment_buffer 1
		.amdhsa_user_sgpr_dispatch_ptr 0
		.amdhsa_user_sgpr_queue_ptr 0
		.amdhsa_user_sgpr_kernarg_segment_ptr 1
		.amdhsa_user_sgpr_dispatch_id 0
		.amdhsa_user_sgpr_flat_scratch_init 0
		.amdhsa_user_sgpr_private_segment_size 0
		.amdhsa_uses_dynamic_stack 0
		.amdhsa_system_sgpr_private_segment_wavefront_offset 0
		.amdhsa_system_sgpr_workgroup_id_x 1
		.amdhsa_system_sgpr_workgroup_id_y 1
		.amdhsa_system_sgpr_workgroup_id_z 1
		.amdhsa_system_sgpr_workgroup_info 0
		.amdhsa_system_vgpr_workitem_id 1
		.amdhsa_next_free_vgpr 68
		.amdhsa_next_free_sgpr 98
		.amdhsa_reserve_vcc 1
		.amdhsa_reserve_flat_scratch 0
		.amdhsa_float_round_mode_32 0
		.amdhsa_float_round_mode_16_64 0
		.amdhsa_float_denorm_mode_32 3
		.amdhsa_float_denorm_mode_16_64 3
		.amdhsa_dx10_clamp 1
		.amdhsa_ieee_mode 1
		.amdhsa_fp16_overflow 0
		.amdhsa_exception_fp_ieee_invalid_op 0
		.amdhsa_exception_fp_denorm_src 0
		.amdhsa_exception_fp_ieee_div_zero 0
		.amdhsa_exception_fp_ieee_overflow 0
		.amdhsa_exception_fp_ieee_underflow 0
		.amdhsa_exception_fp_ieee_inexact 0
		.amdhsa_exception_int_div_zero 0
	.end_amdhsa_kernel
	.section	.text._ZL15flash_attn_tileILi192ELi128ELi2ELi16ELb0EEvPKcS1_S1_S1_S1_PKiPfP15HIP_vector_typeIfLj2EEffffjfiS5_IjLj3EEiiiiiiiiiiiliiliiiiil,"axG",@progbits,_ZL15flash_attn_tileILi192ELi128ELi2ELi16ELb0EEvPKcS1_S1_S1_S1_PKiPfP15HIP_vector_typeIfLj2EEffffjfiS5_IjLj3EEiiiiiiiiiiiliiliiiiil,comdat
.Lfunc_end0:
	.size	_ZL15flash_attn_tileILi192ELi128ELi2ELi16ELb0EEvPKcS1_S1_S1_S1_PKiPfP15HIP_vector_typeIfLj2EEffffjfiS5_IjLj3EEiiiiiiiiiiiliiliiiiil, .Lfunc_end0-_ZL15flash_attn_tileILi192ELi128ELi2ELi16ELb0EEvPKcS1_S1_S1_S1_PKiPfP15HIP_vector_typeIfLj2EEffffjfiS5_IjLj3EEiiiiiiiiiiiliiliiiiil
                                        ; -- End function
	.set _ZL15flash_attn_tileILi192ELi128ELi2ELi16ELb0EEvPKcS1_S1_S1_S1_PKiPfP15HIP_vector_typeIfLj2EEffffjfiS5_IjLj3EEiiiiiiiiiiiliiliiiiil.num_vgpr, 68
	.set _ZL15flash_attn_tileILi192ELi128ELi2ELi16ELb0EEvPKcS1_S1_S1_S1_PKiPfP15HIP_vector_typeIfLj2EEffffjfiS5_IjLj3EEiiiiiiiiiiiliiliiiiil.num_agpr, 0
	.set _ZL15flash_attn_tileILi192ELi128ELi2ELi16ELb0EEvPKcS1_S1_S1_S1_PKiPfP15HIP_vector_typeIfLj2EEffffjfiS5_IjLj3EEiiiiiiiiiiiliiliiiiil.numbered_sgpr, 40
	.set _ZL15flash_attn_tileILi192ELi128ELi2ELi16ELb0EEvPKcS1_S1_S1_S1_PKiPfP15HIP_vector_typeIfLj2EEffffjfiS5_IjLj3EEiiiiiiiiiiiliiliiiiil.num_named_barrier, 0
	.set _ZL15flash_attn_tileILi192ELi128ELi2ELi16ELb0EEvPKcS1_S1_S1_S1_PKiPfP15HIP_vector_typeIfLj2EEffffjfiS5_IjLj3EEiiiiiiiiiiiliiliiiiil.private_seg_size, 0
	.set _ZL15flash_attn_tileILi192ELi128ELi2ELi16ELb0EEvPKcS1_S1_S1_S1_PKiPfP15HIP_vector_typeIfLj2EEffffjfiS5_IjLj3EEiiiiiiiiiiiliiliiiiil.uses_vcc, 1
	.set _ZL15flash_attn_tileILi192ELi128ELi2ELi16ELb0EEvPKcS1_S1_S1_S1_PKiPfP15HIP_vector_typeIfLj2EEffffjfiS5_IjLj3EEiiiiiiiiiiiliiliiiiil.uses_flat_scratch, 0
	.set _ZL15flash_attn_tileILi192ELi128ELi2ELi16ELb0EEvPKcS1_S1_S1_S1_PKiPfP15HIP_vector_typeIfLj2EEffffjfiS5_IjLj3EEiiiiiiiiiiiliiliiiiil.has_dyn_sized_stack, 0
	.set _ZL15flash_attn_tileILi192ELi128ELi2ELi16ELb0EEvPKcS1_S1_S1_S1_PKiPfP15HIP_vector_typeIfLj2EEffffjfiS5_IjLj3EEiiiiiiiiiiiliiliiiiil.has_recursion, 0
	.set _ZL15flash_attn_tileILi192ELi128ELi2ELi16ELb0EEvPKcS1_S1_S1_S1_PKiPfP15HIP_vector_typeIfLj2EEffffjfiS5_IjLj3EEiiiiiiiiiiiliiliiiiil.has_indirect_call, 0
	.section	.AMDGPU.csdata,"",@progbits
; Kernel info:
; codeLenInByte = 14232
; TotalNumSgprs: 44
; NumVgprs: 68
; ScratchSize: 0
; MemoryBound: 0
; FloatMode: 240
; IeeeMode: 1
; LDSByteSize: 18944 bytes/workgroup (compile time only)
; SGPRBlocks: 12
; VGPRBlocks: 16
; NumSGPRsForWavesPerEU: 102
; NumVGPRsForWavesPerEU: 68
; Occupancy: 3
; WaveLimiterHint : 1
; COMPUTE_PGM_RSRC2:SCRATCH_EN: 0
; COMPUTE_PGM_RSRC2:USER_SGPR: 6
; COMPUTE_PGM_RSRC2:TRAP_HANDLER: 0
; COMPUTE_PGM_RSRC2:TGID_X_EN: 1
; COMPUTE_PGM_RSRC2:TGID_Y_EN: 1
; COMPUTE_PGM_RSRC2:TGID_Z_EN: 1
; COMPUTE_PGM_RSRC2:TIDIG_COMP_CNT: 1
	.section	.text._ZL25flash_attn_mask_to_KV_maxILi2EEvPK7__half2Piiii,"axG",@progbits,_ZL25flash_attn_mask_to_KV_maxILi2EEvPK7__half2Piiii,comdat
	.globl	_ZL25flash_attn_mask_to_KV_maxILi2EEvPK7__half2Piiii ; -- Begin function _ZL25flash_attn_mask_to_KV_maxILi2EEvPK7__half2Piiii
	.p2align	8
	.type	_ZL25flash_attn_mask_to_KV_maxILi2EEvPK7__half2Piiii,@function
_ZL25flash_attn_mask_to_KV_maxILi2EEvPK7__half2Piiii: ; @_ZL25flash_attn_mask_to_KV_maxILi2EEvPK7__half2Piiii
; %bb.0:
	s_load_dwordx4 s[8:11], s[4:5], 0x0
	v_cmp_gt_u32_e32 vcc, 32, v0
	s_and_saveexec_b64 s[0:1], vcc
; %bb.1:
	v_lshlrev_b32_e32 v1, 2, v0
	v_mov_b32_e32 v2, 1
	ds_write_b32 v1, v2
; %bb.2:
	s_or_b64 exec, exec, s[0:1]
	s_load_dwordx4 s[12:15], s[4:5], 0x10
	s_waitcnt lgkmcnt(0)
	s_load_dword s15, s[4:5], 0x20
	v_and_b32_e32 v1, 31, v0
	v_lshlrev_b32_e32 v4, 2, v1
                                        ; kill: killed $sgpr4_sgpr5
	v_lshrrev_b32_e32 v3, 3, v0
	s_mul_i32 s1, s6, s13
	s_mul_i32 s0, s14, s7
	s_lshl_b32 s1, s1, 1
	s_add_i32 s0, s0, s1
	s_ashr_i32 s1, s0, 31
	s_lshl_b64 s[0:1], s[0:1], 2
	s_add_u32 s14, s8, s0
	s_addc_u32 s16, s9, s1
	v_cmp_eq_u32_e64 s[0:1], 0, v1
	v_mbcnt_lo_u32_b32 v1, -1, 0
	v_mbcnt_hi_u32_b32 v5, -1, v1
	v_and_b32_e32 v1, 0x60, v5
	s_lshl_b32 s12, s12, 8
	s_mov_b64 s[4:5], 0
	v_mov_b32_e32 v2, 0
	s_movk_i32 s17, 0x204
	v_add_u32_e32 v6, 32, v1
	v_xor_b32_e32 v7, 16, v5
	v_xor_b32_e32 v8, 8, v5
	v_xor_b32_e32 v9, 4, v5
	v_xor_b32_e32 v10, 2, v5
	v_xor_b32_e32 v11, 1, v5
	s_waitcnt lgkmcnt(0)
	s_barrier
                                        ; implicit-def: $sgpr2_sgpr3
	s_branch .LBB1_5
.LBB1_3:                                ;   in Loop: Header=BB1_5 Depth=1
	s_or_b64 exec, exec, s[8:9]
	s_waitcnt lgkmcnt(0)
	s_barrier
	ds_read_b32 v16, v4
	s_waitcnt lgkmcnt(0)
	s_barrier
	ds_bpermute_b32 v1, v1, v16
	v_cmp_ne_u32_e32 vcc, 0, v16
	s_waitcnt lgkmcnt(0)
	v_cmp_ne_u32_e64 s[2:3], 0, v1
	s_and_b64 s[2:3], vcc, s[2:3]
	v_cndmask_b32_e64 v1, 0, 1, s[2:3]
	ds_bpermute_b32 v1, v12, v1
	s_waitcnt lgkmcnt(0)
	v_cmp_ne_u32_e32 vcc, 0, v1
	s_and_b64 s[2:3], vcc, s[2:3]
	v_cndmask_b32_e64 v1, 0, 1, s[2:3]
	ds_bpermute_b32 v1, v13, v1
	s_waitcnt lgkmcnt(0)
	v_cmp_ne_u32_e32 vcc, 0, v1
	;; [unrolled: 5-line block ×3, first 2 shown]
	s_and_b64 s[2:3], vcc, s[2:3]
	v_cndmask_b32_e64 v1, 0, 1, s[2:3]
	ds_bpermute_b32 v1, v15, v1
	s_xor_b64 s[2:3], s[2:3], -1
	s_waitcnt lgkmcnt(0)
	v_cmp_eq_u32_e32 vcc, 0, v1
	s_or_b64 s[2:3], vcc, s[2:3]
.LBB1_4:                                ;   in Loop: Header=BB1_5 Depth=1
	s_and_b64 s[8:9], exec, s[2:3]
	s_or_b64 s[4:5], s[8:9], s[4:5]
	v_mov_b32_e32 v1, s12
	s_mov_b32 s12, s18
	s_andn2_b64 exec, exec, s[4:5]
	s_cbranch_execz .LBB1_12
.LBB1_5:                                ; =>This Inner Loop Header: Depth=1
	s_add_i32 s18, s12, 0xffffff00
	s_or_b64 s[2:3], s[2:3], exec
	s_cmp_lt_i32 s18, 0
	s_cbranch_scc1 .LBB1_4
; %bb.6:                                ;   in Loop: Header=BB1_5 Depth=1
	s_lshr_b32 s2, s18, 1
	v_add_u32_e32 v1, s2, v0
	v_lshlrev_b64 v[12:13], 2, v[1:2]
	v_mov_b32_e32 v14, s16
	v_add_co_u32_e32 v12, vcc, s14, v12
	v_addc_co_u32_e32 v13, vcc, v14, v13, vcc
	global_load_dword v12, v[12:13], off
	s_waitcnt vmcnt(0)
	v_cmp_class_f16_e64 s[2:3], v12, s17
	v_cmp_class_f16_sdwa s[8:9], v12, s17 src0_sel:WORD_1 src1_sel:DWORD
	s_and_b64 s[8:9], s[2:3], s[8:9]
	v_mov_b32_e32 v12, 0
	s_and_saveexec_b64 s[2:3], s[8:9]
	s_cbranch_execz .LBB1_10
; %bb.7:                                ;   in Loop: Header=BB1_5 Depth=1
	v_add_u32_e32 v12, s13, v1
	v_ashrrev_i32_e32 v13, 31, v12
	v_lshlrev_b64 v[12:13], 2, v[12:13]
	v_mov_b32_e32 v1, s16
	v_add_co_u32_e32 v12, vcc, s14, v12
	v_addc_co_u32_e32 v13, vcc, v1, v13, vcc
	global_load_dword v1, v[12:13], off
	v_mov_b32_e32 v12, 0
	s_waitcnt vmcnt(0)
	v_cmp_class_f16_e64 s[20:21], v1, s17
	s_and_saveexec_b64 s[8:9], s[20:21]
; %bb.8:                                ;   in Loop: Header=BB1_5 Depth=1
	v_cmp_class_f16_sdwa s[20:21], v1, s17 src0_sel:WORD_1 src1_sel:DWORD
	v_cndmask_b32_e64 v12, 0, 1, s[20:21]
; %bb.9:                                ;   in Loop: Header=BB1_5 Depth=1
	s_or_b64 exec, exec, s[8:9]
.LBB1_10:                               ;   in Loop: Header=BB1_5 Depth=1
	s_or_b64 exec, exec, s[2:3]
	v_cmp_lt_i32_e32 vcc, v7, v6
	v_cndmask_b32_e32 v1, v5, v7, vcc
	v_lshlrev_b32_e32 v1, 2, v1
	ds_bpermute_b32 v13, v1, v12
	v_cmp_ne_u32_e32 vcc, 0, v12
	s_waitcnt lgkmcnt(0)
	v_cmp_ne_u32_e64 s[2:3], 0, v13
	s_and_b64 s[2:3], vcc, s[2:3]
	v_cmp_lt_i32_e32 vcc, v8, v6
	v_cndmask_b32_e32 v12, v5, v8, vcc
	v_cndmask_b32_e64 v13, 0, 1, s[2:3]
	v_lshlrev_b32_e32 v12, 2, v12
	ds_bpermute_b32 v13, v12, v13
	s_waitcnt lgkmcnt(0)
	v_cmp_ne_u32_e32 vcc, 0, v13
	s_and_b64 s[2:3], vcc, s[2:3]
	v_cmp_lt_i32_e32 vcc, v9, v6
	v_cndmask_b32_e32 v13, v5, v9, vcc
	v_cndmask_b32_e64 v14, 0, 1, s[2:3]
	v_lshlrev_b32_e32 v13, 2, v13
	ds_bpermute_b32 v14, v13, v14
	s_waitcnt lgkmcnt(0)
	v_cmp_ne_u32_e32 vcc, 0, v14
	;; [unrolled: 8-line block ×3, first 2 shown]
	s_and_b64 s[2:3], vcc, s[2:3]
	v_cmp_lt_i32_e32 vcc, v11, v6
	v_cndmask_b32_e32 v15, v5, v11, vcc
	v_cndmask_b32_e64 v16, 0, 1, s[2:3]
	v_lshlrev_b32_e32 v15, 2, v15
	ds_bpermute_b32 v16, v15, v16
	s_and_saveexec_b64 s[8:9], s[0:1]
	s_cbranch_execz .LBB1_3
; %bb.11:                               ;   in Loop: Header=BB1_5 Depth=1
	s_waitcnt lgkmcnt(0)
	v_cmp_ne_u32_e32 vcc, 0, v16
	s_and_b64 s[2:3], vcc, s[2:3]
	v_cndmask_b32_e64 v16, 0, 1, s[2:3]
	ds_write_b32 v3, v16
	s_branch .LBB1_3
.LBB1_12:
	s_or_b64 exec, exec, s[4:5]
	v_cmp_eq_u32_e32 vcc, 0, v0
	s_and_saveexec_b64 s[0:1], vcc
	s_cbranch_execz .LBB1_14
; %bb.13:
	s_mul_i32 s0, s15, s7
	s_add_i32 s0, s0, s6
	s_ashr_i32 s1, s0, 31
	s_lshl_b64 s[0:1], s[0:1], 2
	s_add_u32 s0, s10, s0
	s_addc_u32 s1, s11, s1
	v_mov_b32_e32 v0, 0
	global_store_dword v0, v1, s[0:1]
.LBB1_14:
	s_endpgm
	.section	.rodata,"a",@progbits
	.p2align	6, 0x0
	.amdhsa_kernel _ZL25flash_attn_mask_to_KV_maxILi2EEvPK7__half2Piiii
		.amdhsa_group_segment_fixed_size 128
		.amdhsa_private_segment_fixed_size 0
		.amdhsa_kernarg_size 288
		.amdhsa_user_sgpr_count 6
		.amdhsa_user_sgpr_private_segment_buffer 1
		.amdhsa_user_sgpr_dispatch_ptr 0
		.amdhsa_user_sgpr_queue_ptr 0
		.amdhsa_user_sgpr_kernarg_segment_ptr 1
		.amdhsa_user_sgpr_dispatch_id 0
		.amdhsa_user_sgpr_flat_scratch_init 0
		.amdhsa_user_sgpr_private_segment_size 0
		.amdhsa_uses_dynamic_stack 0
		.amdhsa_system_sgpr_private_segment_wavefront_offset 0
		.amdhsa_system_sgpr_workgroup_id_x 1
		.amdhsa_system_sgpr_workgroup_id_y 1
		.amdhsa_system_sgpr_workgroup_id_z 0
		.amdhsa_system_sgpr_workgroup_info 0
		.amdhsa_system_vgpr_workitem_id 0
		.amdhsa_next_free_vgpr 17
		.amdhsa_next_free_sgpr 22
		.amdhsa_reserve_vcc 1
		.amdhsa_reserve_flat_scratch 0
		.amdhsa_float_round_mode_32 0
		.amdhsa_float_round_mode_16_64 0
		.amdhsa_float_denorm_mode_32 3
		.amdhsa_float_denorm_mode_16_64 3
		.amdhsa_dx10_clamp 1
		.amdhsa_ieee_mode 1
		.amdhsa_fp16_overflow 0
		.amdhsa_exception_fp_ieee_invalid_op 0
		.amdhsa_exception_fp_denorm_src 0
		.amdhsa_exception_fp_ieee_div_zero 0
		.amdhsa_exception_fp_ieee_overflow 0
		.amdhsa_exception_fp_ieee_underflow 0
		.amdhsa_exception_fp_ieee_inexact 0
		.amdhsa_exception_int_div_zero 0
	.end_amdhsa_kernel
	.section	.text._ZL25flash_attn_mask_to_KV_maxILi2EEvPK7__half2Piiii,"axG",@progbits,_ZL25flash_attn_mask_to_KV_maxILi2EEvPK7__half2Piiii,comdat
.Lfunc_end1:
	.size	_ZL25flash_attn_mask_to_KV_maxILi2EEvPK7__half2Piiii, .Lfunc_end1-_ZL25flash_attn_mask_to_KV_maxILi2EEvPK7__half2Piiii
                                        ; -- End function
	.set _ZL25flash_attn_mask_to_KV_maxILi2EEvPK7__half2Piiii.num_vgpr, 17
	.set _ZL25flash_attn_mask_to_KV_maxILi2EEvPK7__half2Piiii.num_agpr, 0
	.set _ZL25flash_attn_mask_to_KV_maxILi2EEvPK7__half2Piiii.numbered_sgpr, 22
	.set _ZL25flash_attn_mask_to_KV_maxILi2EEvPK7__half2Piiii.num_named_barrier, 0
	.set _ZL25flash_attn_mask_to_KV_maxILi2EEvPK7__half2Piiii.private_seg_size, 0
	.set _ZL25flash_attn_mask_to_KV_maxILi2EEvPK7__half2Piiii.uses_vcc, 1
	.set _ZL25flash_attn_mask_to_KV_maxILi2EEvPK7__half2Piiii.uses_flat_scratch, 0
	.set _ZL25flash_attn_mask_to_KV_maxILi2EEvPK7__half2Piiii.has_dyn_sized_stack, 0
	.set _ZL25flash_attn_mask_to_KV_maxILi2EEvPK7__half2Piiii.has_recursion, 0
	.set _ZL25flash_attn_mask_to_KV_maxILi2EEvPK7__half2Piiii.has_indirect_call, 0
	.section	.AMDGPU.csdata,"",@progbits
; Kernel info:
; codeLenInByte = 836
; TotalNumSgprs: 26
; NumVgprs: 17
; ScratchSize: 0
; MemoryBound: 0
; FloatMode: 240
; IeeeMode: 1
; LDSByteSize: 128 bytes/workgroup (compile time only)
; SGPRBlocks: 3
; VGPRBlocks: 4
; NumSGPRsForWavesPerEU: 26
; NumVGPRsForWavesPerEU: 17
; Occupancy: 10
; WaveLimiterHint : 0
; COMPUTE_PGM_RSRC2:SCRATCH_EN: 0
; COMPUTE_PGM_RSRC2:USER_SGPR: 6
; COMPUTE_PGM_RSRC2:TRAP_HANDLER: 0
; COMPUTE_PGM_RSRC2:TGID_X_EN: 1
; COMPUTE_PGM_RSRC2:TGID_Y_EN: 1
; COMPUTE_PGM_RSRC2:TGID_Z_EN: 0
; COMPUTE_PGM_RSRC2:TIDIG_COMP_CNT: 0
	.section	.text._ZL33flash_attn_stream_k_fixup_uniformILi128ELi2ELi16EEvPfPK15HIP_vector_typeIfLj2EEiiiiiiS1_IjLj3EES5_S5_,"axG",@progbits,_ZL33flash_attn_stream_k_fixup_uniformILi128ELi2ELi16EEvPfPK15HIP_vector_typeIfLj2EEiiiiiiS1_IjLj3EES5_S5_,comdat
	.globl	_ZL33flash_attn_stream_k_fixup_uniformILi128ELi2ELi16EEvPfPK15HIP_vector_typeIfLj2EEiiiiiiS1_IjLj3EES5_S5_ ; -- Begin function _ZL33flash_attn_stream_k_fixup_uniformILi128ELi2ELi16EEvPfPK15HIP_vector_typeIfLj2EEiiiiiiS1_IjLj3EES5_S5_
	.p2align	8
	.type	_ZL33flash_attn_stream_k_fixup_uniformILi128ELi2ELi16EEvPfPK15HIP_vector_typeIfLj2EEiiiiiiS1_IjLj3EES5_S5_,@function
_ZL33flash_attn_stream_k_fixup_uniformILi128ELi2ELi16EEvPfPK15HIP_vector_typeIfLj2EEiiiiiiS1_IjLj3EES5_S5_: ; @_ZL33flash_attn_stream_k_fixup_uniformILi128ELi2ELi16EEvPfPK15HIP_vector_typeIfLj2EEiiiiiiS1_IjLj3EES5_S5_
; %bb.0:
	s_load_dwordx8 s[12:19], s[4:5], 0x1c
	s_load_dwordx2 s[10:11], s[4:5], 0x10
	s_load_dwordx4 s[0:3], s[4:5], 0x3c
	s_waitcnt lgkmcnt(0)
	s_mul_hi_u32 s9, s15, s6
	s_add_i32 s9, s6, s9
	s_lshr_b32 s9, s9, s16
	s_mul_i32 s15, s9, s17
	s_sub_i32 s15, s6, s15
	s_mul_hi_u32 s16, s15, s18
	s_add_i32 s16, s15, s16
	s_lshr_b32 s16, s16, s19
	s_mul_i32 s0, s16, s0
	s_sub_i32 s0, s15, s0
	;; [unrolled: 5-line block ×3, first 2 shown]
	s_lshl_b32 s0, s17, 1
	s_lshl_b32 s15, s1, 4
	s_add_i32 s0, s0, s7
	s_cmp_lt_i32 s0, s10
	s_cselect_b64 s[0:1], -1, 0
	s_add_i32 s2, s15, s8
	s_cmp_lt_i32 s2, s13
	s_cselect_b64 s[2:3], -1, 0
	s_and_b64 s[0:1], s[0:1], s[2:3]
	s_andn2_b64 vcc, exec, s[0:1]
	s_cbranch_vccnz .LBB2_6
; %bb.1:
	s_load_dwordx4 s[0:3], s[4:5], 0x0
	s_mul_i32 s4, s9, s10
	s_add_i32 s4, s4, s7
	s_mul_i32 s4, s4, s11
	s_mul_i32 s16, s16, s13
	s_add_i32 s4, s4, s8
	s_add_i32 s4, s4, s16
	s_mul_i32 s5, s11, s17
	s_add_i32 s4, s4, s15
	s_lshl_b32 s5, s5, 8
	s_lshl_b32 s4, s4, 7
	s_add_i32 s5, s5, s4
	v_or_b32_e32 v1, s5, v0
	v_ashrrev_i32_e32 v2, 31, v1
	v_lshlrev_b64 v[1:2], 2, v[1:2]
	s_waitcnt lgkmcnt(0)
	v_mov_b32_e32 v3, s1
	v_add_co_u32_e32 v1, vcc, s0, v1
	v_addc_co_u32_e32 v2, vcc, v3, v2, vcc
	global_load_dword v8, v[1:2], off
	s_mul_i32 s9, s14, s6
	s_lshl_b32 s4, s7, 4
	s_add_i32 s11, s9, s14
	s_add_i32 s0, s4, s8
	s_lshl_b32 s1, s11, 5
	s_add_i32 s0, s0, s1
	s_sub_i32 s0, s0, 32
	s_ashr_i32 s1, s0, 31
	s_lshl_b64 s[0:1], s[0:1], 3
	s_add_u32 s0, s2, s0
	s_addc_u32 s1, s3, s1
	s_load_dword s5, s[0:1], 0x4
	s_add_i32 s10, s11, -2
	s_cmp_lt_i32 s10, s9
	s_cbranch_scc1 .LBB2_4
; %bb.2:
	s_lshl_b32 s16, s12, 7
	s_ashr_i32 s17, s16, 31
	s_lshl_b64 s[16:17], s[16:17], 2
	s_add_u32 s10, s2, s16
	s_addc_u32 s13, s3, s17
	s_add_i32 s6, s6, 1
	s_load_dword s0, s[0:1], 0x0
	s_mul_i32 s1, s14, s6
	s_lshl_b32 s7, s7, 11
	s_lshl_b32 s14, s8, 7
	;; [unrolled: 1-line block ×3, first 2 shown]
	s_add_i32 s7, s14, s7
	s_lshl_b32 s1, s1, 5
	s_add_i32 s7, s7, s6
	s_add_i32 s1, s8, s1
	s_lshl_b32 s6, s12, 5
	s_add_i32 s1, s1, s6
	v_or_b32_e32 v0, s7, v0
	s_add_i32 s1, s1, s4
	s_add_i32 s11, s11, -1
	v_add_u32_e32 v3, 0xffffe000, v0
	s_sub_i32 s4, s1, 64
	s_waitcnt lgkmcnt(0)
	v_mov_b32_e32 v7, s5
	v_mov_b32_e32 v6, s0
	;; [unrolled: 1-line block ×3, first 2 shown]
	s_mov_b32 s6, 0x3fb8aa3b
	s_mov_b32 s7, 0xc2ce8ed0
	;; [unrolled: 1-line block ×3, first 2 shown]
	v_mov_b32_e32 v5, 0x7f800000
	s_mov_b32 s12, 0xc1a00000
.LBB2_3:                                ; =>This Inner Loop Header: Depth=1
	v_ashrrev_i32_e32 v4, 31, v3
	v_lshlrev_b64 v[9:10], 2, v[3:4]
	s_ashr_i32 s5, s4, 31
	v_add_co_u32_e32 v9, vcc, s10, v9
	v_addc_co_u32_e32 v10, vcc, v0, v10, vcc
	global_load_dword v4, v[9:10], off
	s_lshl_b64 s[0:1], s[4:5], 3
	s_add_u32 s0, s2, s0
	s_addc_u32 s1, s3, s1
	s_load_dwordx2 s[14:15], s[0:1], 0x0
	s_waitcnt vmcnt(1)
	v_mov_b32_e32 v9, v8
	v_max_f32_e32 v8, v6, v6
	v_mov_b32_e32 v10, v7
	s_add_i32 s11, s11, -1
	s_waitcnt lgkmcnt(0)
	v_max_f32_e64 v7, s14, s14
	v_max_f32_e32 v7, v8, v7
	v_sub_f32_e32 v11, s14, v7
	v_sub_f32_e32 v8, v6, v7
	v_mul_f32_e32 v12, 0x3fb8aa3b, v11
	v_mov_b32_e32 v6, v7
	v_mul_f32_e32 v7, 0x3fb8aa3b, v8
	v_fma_f32 v15, v11, s6, -v12
	v_rndne_f32_e32 v16, v12
	v_fma_f32 v13, v8, s6, -v7
	v_rndne_f32_e32 v14, v7
	v_fmac_f32_e32 v15, 0x32a5705f, v11
	v_sub_f32_e32 v12, v12, v16
	v_fmac_f32_e32 v13, 0x32a5705f, v8
	v_sub_f32_e32 v7, v7, v14
	v_add_f32_e32 v12, v12, v15
	v_cvt_i32_f32_e32 v16, v16
	v_add_f32_e32 v7, v7, v13
	v_exp_f32_e32 v12, v12
	v_cvt_i32_f32_e32 v14, v14
	v_exp_f32_e32 v7, v7
	v_cmp_ngt_f32_e32 vcc, s7, v11
	v_ldexp_f32 v12, v12, v16
	v_cmp_ngt_f32_e64 s[0:1], s7, v8
	v_ldexp_f32 v7, v7, v14
	v_cndmask_b32_e32 v12, 0, v12, vcc
	v_cmp_nlt_f32_e32 vcc, s8, v11
	v_cndmask_b32_e64 v7, 0, v7, s[0:1]
	v_cmp_nlt_f32_e64 s[0:1], s8, v8
	v_cndmask_b32_e32 v12, v5, v12, vcc
	v_cmp_le_f32_e32 vcc, s12, v11
	v_cndmask_b32_e64 v7, v5, v7, s[0:1]
	v_cmp_le_f32_e64 s[0:1], s12, v8
	v_cndmask_b32_e32 v8, 0, v12, vcc
	s_sub_i32 s4, s4, 32
	v_cndmask_b32_e64 v11, 0, v7, s[0:1]
	v_mul_f32_e32 v7, s15, v8
	v_add_u32_e32 v3, 0xfffff000, v3
	s_cmp_le_i32 s11, s9
	v_fmac_f32_e32 v7, v10, v11
	s_waitcnt vmcnt(0)
	v_mul_f32_e32 v8, v4, v8
	v_fmac_f32_e32 v8, v9, v11
	s_cbranch_scc0 .LBB2_3
	s_branch .LBB2_5
.LBB2_4:
	s_waitcnt lgkmcnt(0)
	v_mov_b32_e32 v7, s5
.LBB2_5:
	s_waitcnt vmcnt(0)
	v_div_scale_f32 v0, s[0:1], v7, v7, v8
	v_div_scale_f32 v3, vcc, v8, v7, v8
	v_rcp_f32_e32 v4, v0
	v_fma_f32 v5, -v0, v4, 1.0
	v_fmac_f32_e32 v4, v5, v4
	v_mul_f32_e32 v5, v3, v4
	v_fma_f32 v6, -v0, v5, v3
	v_fmac_f32_e32 v5, v6, v4
	v_fma_f32 v0, -v0, v5, v3
	v_div_fmas_f32 v0, v0, v4, v5
	v_div_fixup_f32 v0, v0, v7, v8
	global_store_dword v[1:2], v0, off
.LBB2_6:
	s_endpgm
	.section	.rodata,"a",@progbits
	.p2align	6, 0x0
	.amdhsa_kernel _ZL33flash_attn_stream_k_fixup_uniformILi128ELi2ELi16EEvPfPK15HIP_vector_typeIfLj2EEiiiiiiS1_IjLj3EES5_S5_
		.amdhsa_group_segment_fixed_size 0
		.amdhsa_private_segment_fixed_size 0
		.amdhsa_kernarg_size 76
		.amdhsa_user_sgpr_count 6
		.amdhsa_user_sgpr_private_segment_buffer 1
		.amdhsa_user_sgpr_dispatch_ptr 0
		.amdhsa_user_sgpr_queue_ptr 0
		.amdhsa_user_sgpr_kernarg_segment_ptr 1
		.amdhsa_user_sgpr_dispatch_id 0
		.amdhsa_user_sgpr_flat_scratch_init 0
		.amdhsa_user_sgpr_private_segment_size 0
		.amdhsa_uses_dynamic_stack 0
		.amdhsa_system_sgpr_private_segment_wavefront_offset 0
		.amdhsa_system_sgpr_workgroup_id_x 1
		.amdhsa_system_sgpr_workgroup_id_y 1
		.amdhsa_system_sgpr_workgroup_id_z 1
		.amdhsa_system_sgpr_workgroup_info 0
		.amdhsa_system_vgpr_workitem_id 0
		.amdhsa_next_free_vgpr 17
		.amdhsa_next_free_sgpr 20
		.amdhsa_reserve_vcc 1
		.amdhsa_reserve_flat_scratch 0
		.amdhsa_float_round_mode_32 0
		.amdhsa_float_round_mode_16_64 0
		.amdhsa_float_denorm_mode_32 3
		.amdhsa_float_denorm_mode_16_64 3
		.amdhsa_dx10_clamp 1
		.amdhsa_ieee_mode 1
		.amdhsa_fp16_overflow 0
		.amdhsa_exception_fp_ieee_invalid_op 0
		.amdhsa_exception_fp_denorm_src 0
		.amdhsa_exception_fp_ieee_div_zero 0
		.amdhsa_exception_fp_ieee_overflow 0
		.amdhsa_exception_fp_ieee_underflow 0
		.amdhsa_exception_fp_ieee_inexact 0
		.amdhsa_exception_int_div_zero 0
	.end_amdhsa_kernel
	.section	.text._ZL33flash_attn_stream_k_fixup_uniformILi128ELi2ELi16EEvPfPK15HIP_vector_typeIfLj2EEiiiiiiS1_IjLj3EES5_S5_,"axG",@progbits,_ZL33flash_attn_stream_k_fixup_uniformILi128ELi2ELi16EEvPfPK15HIP_vector_typeIfLj2EEiiiiiiS1_IjLj3EES5_S5_,comdat
.Lfunc_end2:
	.size	_ZL33flash_attn_stream_k_fixup_uniformILi128ELi2ELi16EEvPfPK15HIP_vector_typeIfLj2EEiiiiiiS1_IjLj3EES5_S5_, .Lfunc_end2-_ZL33flash_attn_stream_k_fixup_uniformILi128ELi2ELi16EEvPfPK15HIP_vector_typeIfLj2EEiiiiiiS1_IjLj3EES5_S5_
                                        ; -- End function
	.set _ZL33flash_attn_stream_k_fixup_uniformILi128ELi2ELi16EEvPfPK15HIP_vector_typeIfLj2EEiiiiiiS1_IjLj3EES5_S5_.num_vgpr, 17
	.set _ZL33flash_attn_stream_k_fixup_uniformILi128ELi2ELi16EEvPfPK15HIP_vector_typeIfLj2EEiiiiiiS1_IjLj3EES5_S5_.num_agpr, 0
	.set _ZL33flash_attn_stream_k_fixup_uniformILi128ELi2ELi16EEvPfPK15HIP_vector_typeIfLj2EEiiiiiiS1_IjLj3EES5_S5_.numbered_sgpr, 20
	.set _ZL33flash_attn_stream_k_fixup_uniformILi128ELi2ELi16EEvPfPK15HIP_vector_typeIfLj2EEiiiiiiS1_IjLj3EES5_S5_.num_named_barrier, 0
	.set _ZL33flash_attn_stream_k_fixup_uniformILi128ELi2ELi16EEvPfPK15HIP_vector_typeIfLj2EEiiiiiiS1_IjLj3EES5_S5_.private_seg_size, 0
	.set _ZL33flash_attn_stream_k_fixup_uniformILi128ELi2ELi16EEvPfPK15HIP_vector_typeIfLj2EEiiiiiiS1_IjLj3EES5_S5_.uses_vcc, 1
	.set _ZL33flash_attn_stream_k_fixup_uniformILi128ELi2ELi16EEvPfPK15HIP_vector_typeIfLj2EEiiiiiiS1_IjLj3EES5_S5_.uses_flat_scratch, 0
	.set _ZL33flash_attn_stream_k_fixup_uniformILi128ELi2ELi16EEvPfPK15HIP_vector_typeIfLj2EEiiiiiiS1_IjLj3EES5_S5_.has_dyn_sized_stack, 0
	.set _ZL33flash_attn_stream_k_fixup_uniformILi128ELi2ELi16EEvPfPK15HIP_vector_typeIfLj2EEiiiiiiS1_IjLj3EES5_S5_.has_recursion, 0
	.set _ZL33flash_attn_stream_k_fixup_uniformILi128ELi2ELi16EEvPfPK15HIP_vector_typeIfLj2EEiiiiiiS1_IjLj3EES5_S5_.has_indirect_call, 0
	.section	.AMDGPU.csdata,"",@progbits
; Kernel info:
; codeLenInByte = 856
; TotalNumSgprs: 24
; NumVgprs: 17
; ScratchSize: 0
; MemoryBound: 0
; FloatMode: 240
; IeeeMode: 1
; LDSByteSize: 0 bytes/workgroup (compile time only)
; SGPRBlocks: 2
; VGPRBlocks: 4
; NumSGPRsForWavesPerEU: 24
; NumVGPRsForWavesPerEU: 17
; Occupancy: 10
; WaveLimiterHint : 0
; COMPUTE_PGM_RSRC2:SCRATCH_EN: 0
; COMPUTE_PGM_RSRC2:USER_SGPR: 6
; COMPUTE_PGM_RSRC2:TRAP_HANDLER: 0
; COMPUTE_PGM_RSRC2:TGID_X_EN: 1
; COMPUTE_PGM_RSRC2:TGID_Y_EN: 1
; COMPUTE_PGM_RSRC2:TGID_Z_EN: 1
; COMPUTE_PGM_RSRC2:TIDIG_COMP_CNT: 0
	.section	.text._ZL33flash_attn_stream_k_fixup_generalILi128ELi2ELi16EEvPfPK15HIP_vector_typeIfLj2EEiiiiS1_IjLj3EES5_S5_S5_,"axG",@progbits,_ZL33flash_attn_stream_k_fixup_generalILi128ELi2ELi16EEvPfPK15HIP_vector_typeIfLj2EEiiiiS1_IjLj3EES5_S5_S5_,comdat
	.globl	_ZL33flash_attn_stream_k_fixup_generalILi128ELi2ELi16EEvPfPK15HIP_vector_typeIfLj2EEiiiiS1_IjLj3EES5_S5_S5_ ; -- Begin function _ZL33flash_attn_stream_k_fixup_generalILi128ELi2ELi16EEvPfPK15HIP_vector_typeIfLj2EEiiiiS1_IjLj3EES5_S5_S5_
	.p2align	8
	.type	_ZL33flash_attn_stream_k_fixup_generalILi128ELi2ELi16EEvPfPK15HIP_vector_typeIfLj2EEiiiiS1_IjLj3EES5_S5_S5_,@function
_ZL33flash_attn_stream_k_fixup_generalILi128ELi2ELi16EEvPfPK15HIP_vector_typeIfLj2EEiiiiS1_IjLj3EES5_S5_S5_: ; @_ZL33flash_attn_stream_k_fixup_generalILi128ELi2ELi16EEvPfPK15HIP_vector_typeIfLj2EEiiiiS1_IjLj3EES5_S5_S5_
; %bb.0:
	s_load_dwordx4 s[0:3], s[4:5], 0x10
	s_load_dword s22, s[4:5], 0x50
	s_mov_b32 s12, 0
	s_waitcnt lgkmcnt(0)
	s_mul_hi_i32 s13, s3, s6
	s_cmp_lg_u64 s[12:13], 0
	s_mul_i32 s9, s3, s6
	s_cbranch_scc0 .LBB3_20
; %bb.1:
	s_add_u32 s10, s22, 0
	s_addc_u32 s11, 0, 0
	s_xor_b64 s[10:11], s[10:11], 0
	v_cvt_f32_u32_e32 v1, s10
	v_cvt_f32_u32_e32 v2, s11
	s_sub_u32 s12, 0, s10
	s_subb_u32 s18, 0, s11
	v_madmk_f32 v1, v2, 0x4f800000, v1
	v_rcp_f32_e32 v1, v1
	v_mul_f32_e32 v1, 0x5f7ffffc, v1
	v_mul_f32_e32 v2, 0x2f800000, v1
	v_trunc_f32_e32 v2, v2
	v_madmk_f32 v1, v2, 0xcf800000, v1
	v_cvt_u32_f32_e32 v2, v2
	v_cvt_u32_f32_e32 v1, v1
	v_readfirstlane_b32 s19, v2
	v_readfirstlane_b32 s14, v1
	s_mul_i32 s15, s12, s19
	s_mul_hi_u32 s21, s12, s14
	s_mul_i32 s20, s18, s14
	s_add_i32 s15, s21, s15
	s_add_i32 s15, s15, s20
	s_mul_i32 s23, s12, s14
	s_mul_i32 s21, s14, s15
	s_mul_hi_u32 s24, s14, s23
	s_mul_hi_u32 s20, s14, s15
	s_add_u32 s21, s24, s21
	s_addc_u32 s20, 0, s20
	s_mul_hi_u32 s25, s19, s23
	s_mul_i32 s23, s19, s23
	s_add_u32 s21, s21, s23
	s_mul_hi_u32 s24, s19, s15
	s_addc_u32 s20, s20, s25
	s_addc_u32 s21, s24, 0
	s_mul_i32 s15, s19, s15
	s_add_u32 s15, s20, s15
	s_addc_u32 s20, 0, s21
	s_add_u32 s21, s14, s15
	s_cselect_b64 s[14:15], -1, 0
	s_cmp_lg_u64 s[14:15], 0
	s_addc_u32 s19, s19, s20
	s_mul_i32 s14, s12, s19
	s_mul_hi_u32 s15, s12, s21
	s_add_i32 s14, s15, s14
	s_mul_i32 s18, s18, s21
	s_add_i32 s14, s14, s18
	s_mul_i32 s12, s12, s21
	s_mul_hi_u32 s18, s19, s12
	s_mul_i32 s20, s19, s12
	s_mul_i32 s24, s21, s14
	s_mul_hi_u32 s12, s21, s12
	s_mul_hi_u32 s23, s21, s14
	s_add_u32 s12, s12, s24
	s_addc_u32 s23, 0, s23
	s_add_u32 s12, s12, s20
	s_mul_hi_u32 s15, s19, s14
	s_addc_u32 s12, s23, s18
	s_addc_u32 s15, s15, 0
	s_mul_i32 s14, s19, s14
	s_add_u32 s12, s12, s14
	s_addc_u32 s18, 0, s15
	s_add_u32 s20, s21, s12
	s_cselect_b64 s[14:15], -1, 0
	s_cmp_lg_u64 s[14:15], 0
	s_addc_u32 s18, s19, s18
	s_ashr_i32 s14, s13, 31
	s_add_u32 s12, s9, s14
	s_mov_b32 s15, s14
	s_addc_u32 s13, s13, s14
	s_xor_b64 s[12:13], s[12:13], s[14:15]
	s_mul_i32 s21, s12, s18
	s_mul_hi_u32 s23, s12, s20
	s_mul_hi_u32 s19, s12, s18
	s_add_u32 s21, s23, s21
	s_addc_u32 s19, 0, s19
	s_mul_hi_u32 s24, s13, s20
	s_mul_i32 s20, s13, s20
	s_add_u32 s20, s21, s20
	s_mul_hi_u32 s23, s13, s18
	s_addc_u32 s19, s19, s24
	s_addc_u32 s20, s23, 0
	s_mul_i32 s18, s13, s18
	s_add_u32 s23, s19, s18
	s_addc_u32 s24, 0, s20
	s_mul_i32 s18, s10, s24
	s_mul_hi_u32 s19, s10, s23
	s_add_i32 s18, s19, s18
	s_mul_i32 s19, s11, s23
	s_add_i32 s25, s18, s19
	s_sub_i32 s20, s13, s25
	s_mul_i32 s18, s10, s23
	s_sub_u32 s12, s12, s18
	s_cselect_b64 s[18:19], -1, 0
	s_cmp_lg_u64 s[18:19], 0
	s_subb_u32 s26, s20, s11
	s_sub_u32 s27, s12, s10
	s_cselect_b64 s[20:21], -1, 0
	s_cmp_lg_u64 s[20:21], 0
	s_subb_u32 s20, s26, 0
	s_cmp_ge_u32 s20, s11
	s_cselect_b32 s21, -1, 0
	s_cmp_ge_u32 s27, s10
	s_cselect_b32 s26, -1, 0
	s_cmp_eq_u32 s20, s11
	s_cselect_b32 s20, s26, s21
	s_add_u32 s21, s23, 1
	s_addc_u32 s26, s24, 0
	s_add_u32 s27, s23, 2
	s_addc_u32 s28, s24, 0
	s_cmp_lg_u32 s20, 0
	s_cselect_b32 s20, s27, s21
	s_cselect_b32 s21, s28, s26
	s_cmp_lg_u64 s[18:19], 0
	s_subb_u32 s13, s13, s25
	s_cmp_ge_u32 s13, s11
	s_cselect_b32 s18, -1, 0
	s_cmp_ge_u32 s12, s10
	s_cselect_b32 s10, -1, 0
	s_cmp_eq_u32 s13, s11
	s_cselect_b32 s10, s10, s18
	s_cmp_lg_u32 s10, 0
	s_cselect_b32 s11, s21, s24
	s_cselect_b32 s10, s20, s23
	s_xor_b64 s[12:13], s[14:15], 0
	s_xor_b64 s[10:11], s[10:11], s[12:13]
	s_sub_u32 s10, s10, s12
	s_load_dwordx4 s[12:15], s[4:5], 0x44
	s_cbranch_execnz .LBB3_3
.LBB3_2:
	v_cvt_f32_u32_e32 v1, s22
	s_sub_i32 s10, 0, s22
	v_rcp_iflag_f32_e32 v1, v1
	v_mul_f32_e32 v1, 0x4f7ffffe, v1
	v_cvt_u32_f32_e32 v1, v1
	v_readfirstlane_b32 s11, v1
	s_mul_i32 s10, s10, s11
	s_mul_hi_u32 s10, s11, s10
	s_add_i32 s11, s11, s10
	s_mul_hi_u32 s10, s9, s11
	s_waitcnt lgkmcnt(0)
	s_mul_i32 s15, s10, s22
	s_sub_i32 s9, s9, s15
	s_add_i32 s11, s10, 1
	s_sub_i32 s15, s9, s22
	s_cmp_ge_u32 s9, s22
	s_cselect_b32 s10, s11, s10
	s_cselect_b32 s9, s15, s9
	s_add_i32 s11, s10, 1
	s_cmp_ge_u32 s9, s22
	s_cselect_b32 s10, s11, s10
.LBB3_3:
	s_add_i32 s9, s6, 1
	s_mul_hi_i32 s21, s3, s9
	s_mov_b32 s20, 0
	s_cmp_lg_u64 s[20:21], 0
	s_mul_i32 s9, s3, s9
	s_cbranch_scc0 .LBB3_21
; %bb.4:
	s_add_u32 s16, s22, 0
	s_addc_u32 s17, 0, 0
	s_xor_b64 s[18:19], s[16:17], 0
	v_cvt_f32_u32_e32 v1, s18
	v_cvt_f32_u32_e32 v2, s19
	s_sub_u32 s11, 0, s18
	s_waitcnt lgkmcnt(0)
	s_subb_u32 s15, 0, s19
	v_madmk_f32 v1, v2, 0x4f800000, v1
	v_rcp_f32_e32 v1, v1
	v_mul_f32_e32 v1, 0x5f7ffffc, v1
	v_mul_f32_e32 v2, 0x2f800000, v1
	v_trunc_f32_e32 v2, v2
	v_madmk_f32 v1, v2, 0xcf800000, v1
	v_cvt_u32_f32_e32 v2, v2
	v_cvt_u32_f32_e32 v1, v1
	v_readfirstlane_b32 s20, v2
	v_readfirstlane_b32 s23, v1
	s_mul_i32 s24, s11, s20
	s_mul_hi_u32 s26, s11, s23
	s_mul_i32 s25, s15, s23
	s_add_i32 s24, s26, s24
	s_add_i32 s24, s24, s25
	s_mul_i32 s27, s11, s23
	s_mul_i32 s26, s23, s24
	s_mul_hi_u32 s28, s23, s27
	s_mul_hi_u32 s25, s23, s24
	s_add_u32 s26, s28, s26
	s_addc_u32 s25, 0, s25
	s_mul_hi_u32 s29, s20, s27
	s_mul_i32 s27, s20, s27
	s_add_u32 s26, s26, s27
	s_mul_hi_u32 s28, s20, s24
	s_addc_u32 s25, s25, s29
	s_addc_u32 s26, s28, 0
	s_mul_i32 s24, s20, s24
	s_add_u32 s24, s25, s24
	s_addc_u32 s26, 0, s26
	s_add_u32 s23, s23, s24
	s_cselect_b64 s[24:25], -1, 0
	s_cmp_lg_u64 s[24:25], 0
	s_addc_u32 s20, s20, s26
	s_mul_i32 s24, s11, s20
	s_mul_hi_u32 s25, s11, s23
	s_add_i32 s24, s25, s24
	s_mul_i32 s15, s15, s23
	s_add_i32 s24, s24, s15
	s_mul_i32 s11, s11, s23
	s_mul_hi_u32 s25, s20, s11
	s_mul_i32 s26, s20, s11
	s_mul_i32 s28, s23, s24
	s_mul_hi_u32 s11, s23, s11
	s_mul_hi_u32 s27, s23, s24
	s_add_u32 s11, s11, s28
	s_addc_u32 s27, 0, s27
	s_add_u32 s11, s11, s26
	s_mul_hi_u32 s15, s20, s24
	s_addc_u32 s11, s27, s25
	s_addc_u32 s15, s15, 0
	s_mul_i32 s24, s20, s24
	s_add_u32 s11, s11, s24
	s_addc_u32 s15, 0, s15
	s_add_u32 s11, s23, s11
	s_cselect_b64 s[24:25], -1, 0
	s_cmp_lg_u64 s[24:25], 0
	s_addc_u32 s15, s20, s15
	s_ashr_i32 s24, s21, 31
	s_add_u32 s20, s9, s24
	s_mov_b32 s25, s24
	s_addc_u32 s21, s21, s24
	s_xor_b64 s[20:21], s[20:21], s[24:25]
	s_mul_i32 s26, s20, s15
	s_mul_hi_u32 s27, s20, s11
	s_mul_hi_u32 s23, s20, s15
	s_add_u32 s26, s27, s26
	s_addc_u32 s23, 0, s23
	s_mul_hi_u32 s28, s21, s11
	s_mul_i32 s11, s21, s11
	s_add_u32 s11, s26, s11
	s_mul_hi_u32 s27, s21, s15
	s_addc_u32 s11, s23, s28
	s_addc_u32 s23, s27, 0
	s_mul_i32 s15, s21, s15
	s_add_u32 s11, s11, s15
	s_addc_u32 s15, 0, s23
	s_mul_i32 s23, s18, s15
	s_mul_hi_u32 s26, s18, s11
	s_add_i32 s23, s26, s23
	s_mul_i32 s26, s19, s11
	s_add_i32 s23, s23, s26
	s_sub_i32 s28, s21, s23
	s_mul_i32 s26, s18, s11
	s_sub_u32 s20, s20, s26
	s_cselect_b64 s[26:27], -1, 0
	s_cmp_lg_u64 s[26:27], 0
	s_subb_u32 s30, s28, s19
	s_sub_u32 s31, s20, s18
	s_cselect_b64 s[28:29], -1, 0
	s_cmp_lg_u64 s[28:29], 0
	s_subb_u32 s28, s30, 0
	s_cmp_ge_u32 s28, s19
	s_cselect_b32 s29, -1, 0
	s_cmp_ge_u32 s31, s18
	s_cselect_b32 s30, -1, 0
	s_cmp_eq_u32 s28, s19
	s_cselect_b32 s28, s30, s29
	s_add_u32 s29, s11, 1
	s_addc_u32 s30, s15, 0
	s_add_u32 s31, s11, 2
	s_addc_u32 s33, s15, 0
	s_cmp_lg_u32 s28, 0
	s_cselect_b32 s28, s31, s29
	s_cselect_b32 s29, s33, s30
	s_cmp_lg_u64 s[26:27], 0
	s_subb_u32 s21, s21, s23
	s_cmp_ge_u32 s21, s19
	s_cselect_b32 s23, -1, 0
	s_cmp_ge_u32 s20, s18
	s_cselect_b32 s18, -1, 0
	s_cmp_eq_u32 s21, s19
	s_cselect_b32 s18, s18, s23
	s_cmp_lg_u32 s18, 0
	s_cselect_b32 s19, s29, s15
	s_cselect_b32 s18, s28, s11
	s_xor_b64 s[20:21], s[24:25], 0
	s_xor_b64 s[18:19], s[18:19], s[20:21]
	s_sub_u32 s18, s18, s20
	s_cbranch_execnz .LBB3_6
.LBB3_5:
	v_cvt_f32_u32_e32 v1, s22
	s_sub_i32 s11, 0, s22
	v_rcp_iflag_f32_e32 v1, v1
	v_mul_f32_e32 v1, 0x4f7ffffe, v1
	v_cvt_u32_f32_e32 v1, v1
	s_waitcnt lgkmcnt(0)
	v_readfirstlane_b32 s15, v1
	s_mul_i32 s11, s11, s15
	s_mul_hi_u32 s11, s15, s11
	s_add_i32 s15, s15, s11
	s_mul_hi_u32 s11, s9, s15
	s_mul_i32 s16, s11, s22
	s_sub_i32 s9, s9, s16
	s_add_i32 s15, s11, 1
	s_sub_i32 s16, s9, s22
	s_cmp_ge_u32 s9, s22
	s_cselect_b32 s11, s15, s11
	s_cselect_b32 s9, s16, s9
	s_add_i32 s15, s11, 1
	s_cmp_ge_u32 s9, s22
	s_cselect_b32 s18, s15, s11
.LBB3_6:
	s_cmp_eq_u32 s10, s18
	s_waitcnt lgkmcnt(0)
	s_mul_hi_u32 s9, s10, s12
	s_cselect_b64 s[16:17], -1, 0
	s_add_i32 s9, s9, s10
	s_lshr_b32 s11, s9, s13
	s_mul_i32 s9, s11, s14
	s_cmp_eq_u32 s9, s10
	s_mul_hi_u32 s9, s18, s12
	s_cselect_b64 s[20:21], -1, 0
	s_add_i32 s9, s9, s18
	s_lshr_b32 s9, s9, s13
	s_cmp_eq_u32 s11, s9
	s_mul_i32 s9, s9, s14
	s_cselect_b64 s[24:25], -1, 0
	s_cmp_lg_u32 s9, s18
	s_cselect_b64 s[18:19], -1, 0
	s_and_b64 s[18:19], s[24:25], s[18:19]
	s_or_b64 s[16:17], s[16:17], s[20:21]
	s_or_b64 s[16:17], s[16:17], s[18:19]
	s_and_b64 vcc, exec, s[16:17]
	s_cbranch_vccnz .LBB3_23
; %bb.7:
	s_load_dwordx8 s[24:31], s[4:5], 0x20
	s_load_dword s15, s[4:5], 0x40
	s_waitcnt lgkmcnt(0)
	s_mul_hi_u32 s9, s10, s24
	s_add_i32 s9, s9, s10
	s_lshr_b32 s9, s9, s25
	s_mul_i32 s16, s9, s26
	s_sub_i32 s16, s10, s16
	s_mul_hi_u32 s17, s16, s27
	s_add_i32 s17, s16, s17
	s_lshr_b32 s23, s17, s28
	s_mul_i32 s17, s23, s29
	s_sub_i32 s16, s16, s17
	;; [unrolled: 5-line block ×3, first 2 shown]
	s_mul_hi_u32 s16, s15, s12
	s_add_i32 s15, s15, s16
	s_lshr_b32 s25, s15, s13
	s_lshl_b32 s15, s25, 1
	s_lshl_b32 s24, s17, 4
	s_add_i32 s15, s15, s7
	s_cmp_lt_i32 s15, s0
	s_cselect_b64 s[16:17], -1, 0
	s_add_i32 s15, s24, s8
	s_cmp_lt_i32 s15, s2
	s_cselect_b64 s[18:19], -1, 0
	s_and_b64 s[16:17], s[16:17], s[18:19]
	s_andn2_b64 vcc, exec, s[16:17]
	s_cbranch_vccnz .LBB3_23
; %bb.8:
	s_load_dwordx4 s[16:19], s[4:5], 0x0
	s_mov_b32 s4, 0
	s_lshl_b32 s15, s7, 4
	s_lshl_b32 s20, s22, 7
	s_mov_b32 s21, s4
	s_add_i32 s15, s15, s8
	s_lshl_b64 s[20:21], s[20:21], 2
	s_waitcnt lgkmcnt(0)
	s_add_u32 s20, s18, s20
	s_mul_i32 s0, s9, s0
	s_addc_u32 s21, s19, s21
	s_add_i32 s0, s0, s7
	s_mul_i32 s0, s0, s1
	s_mul_i32 s23, s23, s2
	s_add_i32 s0, s0, s8
	s_add_i32 s0, s0, s23
	s_mul_i32 s2, s1, s25
	s_add_i32 s0, s0, s24
	s_lshl_b32 s2, s2, 8
	s_lshl_b32 s0, s0, 7
	s_add_i32 s2, s2, s0
	v_or_b32_e32 v1, s2, v0
	v_ashrrev_i32_e32 v2, 31, v1
	v_lshlrev_b64 v[1:2], 2, v[1:2]
	v_mov_b32_e32 v3, s17
	v_add_co_u32_e32 v1, vcc, s16, v1
	v_addc_co_u32_e32 v2, vcc, v3, v2, vcc
	global_load_dword v3, v[1:2], off
	v_cvt_f32_u32_e32 v4, s22
	s_lshl_b32 s0, s6, 5
	s_add_i32 s0, s15, s0
	s_ashr_i32 s1, s0, 31
	s_lshl_b64 s[0:1], s[0:1], 3
	v_rcp_iflag_f32_e32 v4, v4
	s_add_u32 s0, s18, s0
	s_addc_u32 s1, s19, s1
	s_load_dwordx2 s[0:1], s[0:1], 0x0
	v_mul_f32_e32 v4, 0x4f7ffffe, v4
	v_cvt_u32_f32_e32 v4, v4
	s_add_i32 s24, s6, -1
	v_lshl_or_b32 v0, s15, 7, v0
	s_waitcnt lgkmcnt(0)
	v_mov_b32_e32 v6, s1
	v_mov_b32_e32 v7, s0
	s_mov_b32 s2, 0x3fb8aa3b
	s_mov_b32 s16, 0xc2ce8ed0
	;; [unrolled: 1-line block ×4, first 2 shown]
	v_mov_b32_e32 v5, 0x7f800000
	s_mul_hi_i32 s5, s24, s3
	s_cmp_lg_u64 s[4:5], 0
	s_mul_i32 s8, s24, s3
	s_cbranch_scc0 .LBB3_19
.LBB3_9:
	s_add_u32 s0, s22, 0
	s_addc_u32 s1, 0, 0
	s_xor_b64 s[0:1], s[0:1], 0
	v_cvt_f32_u32_e32 v8, s0
	v_cvt_f32_u32_e32 v9, s1
	s_sub_u32 s9, 0, s0
	s_subb_u32 s25, 0, s1
	v_mac_f32_e32 v8, 0x4f800000, v9
	v_rcp_f32_e32 v8, v8
	v_mul_f32_e32 v8, 0x5f7ffffc, v8
	v_mul_f32_e32 v9, 0x2f800000, v8
	v_trunc_f32_e32 v9, v9
	v_mac_f32_e32 v8, 0xcf800000, v9
	v_cvt_u32_f32_e32 v9, v9
	v_cvt_u32_f32_e32 v8, v8
	v_readfirstlane_b32 s26, v9
	v_readfirstlane_b32 s6, v8
	s_mul_i32 s7, s9, s26
	s_mul_hi_u32 s28, s9, s6
	s_mul_i32 s27, s25, s6
	s_add_i32 s7, s28, s7
	s_mul_i32 s29, s9, s6
	s_add_i32 s7, s7, s27
	s_mul_i32 s28, s6, s7
	s_mul_hi_u32 s30, s6, s29
	s_mul_hi_u32 s27, s6, s7
	s_add_u32 s28, s30, s28
	s_addc_u32 s27, 0, s27
	s_mul_hi_u32 s31, s26, s29
	s_mul_i32 s29, s26, s29
	s_add_u32 s28, s28, s29
	s_mul_hi_u32 s30, s26, s7
	s_addc_u32 s27, s27, s31
	s_addc_u32 s28, s30, 0
	s_mul_i32 s7, s26, s7
	s_add_u32 s7, s27, s7
	s_addc_u32 s27, 0, s28
	s_add_u32 s28, s6, s7
	s_cselect_b64 s[6:7], -1, 0
	s_cmp_lg_u64 s[6:7], 0
	s_addc_u32 s26, s26, s27
	s_mul_i32 s6, s9, s26
	s_mul_hi_u32 s7, s9, s28
	s_add_i32 s6, s7, s6
	s_mul_i32 s25, s25, s28
	s_add_i32 s6, s6, s25
	s_mul_i32 s9, s9, s28
	s_mul_hi_u32 s25, s26, s9
	s_mul_i32 s27, s26, s9
	s_mul_i32 s30, s28, s6
	s_mul_hi_u32 s9, s28, s9
	s_mul_hi_u32 s29, s28, s6
	s_add_u32 s9, s9, s30
	s_addc_u32 s29, 0, s29
	s_add_u32 s9, s9, s27
	s_mul_hi_u32 s7, s26, s6
	s_addc_u32 s9, s29, s25
	s_addc_u32 s7, s7, 0
	s_mul_i32 s6, s26, s6
	s_add_u32 s6, s9, s6
	s_addc_u32 s9, 0, s7
	s_add_u32 s25, s28, s6
	s_cselect_b64 s[6:7], -1, 0
	s_cmp_lg_u64 s[6:7], 0
	s_addc_u32 s9, s26, s9
	s_ashr_i32 s6, s5, 31
	s_add_u32 s26, s8, s6
	s_mov_b32 s7, s6
	s_addc_u32 s27, s5, s6
	s_xor_b64 s[26:27], s[26:27], s[6:7]
	s_mul_i32 s28, s26, s9
	s_mul_hi_u32 s29, s26, s25
	s_mul_hi_u32 s5, s26, s9
	s_add_u32 s28, s29, s28
	s_addc_u32 s5, 0, s5
	s_mul_hi_u32 s30, s27, s25
	s_mul_i32 s25, s27, s25
	s_add_u32 s25, s28, s25
	s_mul_hi_u32 s29, s27, s9
	s_addc_u32 s5, s5, s30
	s_addc_u32 s25, s29, 0
	s_mul_i32 s9, s27, s9
	s_add_u32 s5, s5, s9
	s_addc_u32 s9, 0, s25
	s_mul_i32 s25, s0, s9
	s_mul_hi_u32 s28, s0, s5
	s_add_i32 s25, s28, s25
	s_mul_i32 s28, s1, s5
	s_add_i32 s25, s25, s28
	s_sub_i32 s30, s27, s25
	s_mul_i32 s28, s0, s5
	s_sub_u32 s26, s26, s28
	s_cselect_b64 s[28:29], -1, 0
	s_cmp_lg_u64 s[28:29], 0
	s_subb_u32 s33, s30, s1
	s_sub_u32 s34, s26, s0
	s_cselect_b64 s[30:31], -1, 0
	s_cmp_lg_u64 s[30:31], 0
	s_subb_u32 s30, s33, 0
	s_cmp_ge_u32 s30, s1
	s_cselect_b32 s31, -1, 0
	s_cmp_ge_u32 s34, s0
	s_cselect_b32 s33, -1, 0
	s_cmp_eq_u32 s30, s1
	s_cselect_b32 s30, s33, s31
	s_add_u32 s31, s5, 1
	s_addc_u32 s33, s9, 0
	s_add_u32 s34, s5, 2
	s_addc_u32 s35, s9, 0
	s_cmp_lg_u32 s30, 0
	s_cselect_b32 s30, s34, s31
	s_cselect_b32 s31, s35, s33
	s_cmp_lg_u64 s[28:29], 0
	s_subb_u32 s25, s27, s25
	s_cmp_ge_u32 s25, s1
	s_cselect_b32 s27, -1, 0
	s_cmp_ge_u32 s26, s0
	s_cselect_b32 s0, -1, 0
	s_cmp_eq_u32 s25, s1
	s_cselect_b32 s0, s0, s27
	s_cmp_lg_u32 s0, 0
	s_cselect_b32 s1, s31, s9
	s_cselect_b32 s0, s30, s5
	s_xor_b64 s[6:7], s[6:7], 0
	s_xor_b64 s[0:1], s[0:1], s[6:7]
	s_sub_u32 s6, s0, s6
	s_cbranch_execnz .LBB3_11
.LBB3_10:
	s_sub_i32 s0, 0, s22
	v_readfirstlane_b32 s1, v4
	s_mul_i32 s0, s0, s1
	s_mul_hi_u32 s0, s1, s0
	s_add_i32 s1, s1, s0
	s_mul_hi_u32 s0, s8, s1
	s_mul_i32 s5, s0, s22
	s_sub_i32 s5, s8, s5
	s_add_i32 s1, s0, 1
	s_sub_i32 s6, s5, s22
	s_cmp_ge_u32 s5, s22
	s_cselect_b32 s0, s1, s0
	s_cselect_b32 s5, s6, s5
	s_add_i32 s1, s0, 1
	s_cmp_ge_u32 s5, s22
	s_cselect_b32 s6, s1, s0
.LBB3_11:
	s_cmp_lg_u32 s10, s6
	s_mov_b64 s[8:9], -1
                                        ; implicit-def: $sgpr0_sgpr1
                                        ; implicit-def: $vgpr10
                                        ; implicit-def: $vgpr8
                                        ; implicit-def: $vgpr9
                                        ; implicit-def: $sgpr5
                                        ; implicit-def: $sgpr7
	s_cbranch_scc1 .LBB3_14
; %bb.12:
	s_andn2_b64 vcc, exec, s[8:9]
	s_cbranch_vccz .LBB3_17
.LBB3_13:
	s_andn2_b64 vcc, exec, s[0:1]
	s_cbranch_vccnz .LBB3_18
	s_branch .LBB3_22
.LBB3_14:
	s_add_i32 s0, s24, s22
	s_lshl_b32 s0, s0, 5
	s_add_i32 s0, s0, s15
	s_mov_b32 s1, s4
	s_lshl_b64 s[0:1], s[0:1], 3
	s_add_u32 s8, s18, s0
	s_mul_hi_u32 s0, s6, s12
	s_addc_u32 s9, s19, s1
	s_add_i32 s0, s0, s6
	s_lshr_b32 s5, s0, s13
	s_mul_i32 s0, s5, s14
	s_cmp_eq_u32 s0, s6
	s_cselect_b64 s[0:1], -1, 0
	s_cmp_lt_u32 s5, s11
	s_cselect_b64 s[26:27], -1, 0
	s_or_b64 s[26:27], s[26:27], s[0:1]
	s_mov_b64 s[0:1], -1
	s_and_b64 vcc, exec, s[26:27]
	s_mov_b32 s5, s24
	s_mov_b32 s7, s10
	s_cbranch_vccnz .LBB3_16
; %bb.15:
	s_add_i32 s5, s24, -1
	s_mov_b64 s[0:1], 0
	s_mov_b32 s7, s6
.LBB3_16:
	v_lshl_add_u32 v8, s24, 12, v0
	v_ashrrev_i32_e32 v9, 31, v8
	v_lshlrev_b64 v[8:9], 2, v[8:9]
	v_mov_b32_e32 v10, s21
	v_add_co_u32_e32 v8, vcc, s20, v8
	v_addc_co_u32_e32 v9, vcc, v10, v9, vcc
	global_load_dword v10, v[8:9], off
	s_load_dwordx2 s[8:9], s[8:9], 0x0
	v_max_f32_e32 v8, v7, v7
	s_waitcnt lgkmcnt(0)
	v_max_f32_e64 v9, s8, s8
	v_max_f32_e32 v8, v8, v9
	v_sub_f32_e32 v9, v7, v8
	v_sub_f32_e32 v11, s8, v8
	v_mul_f32_e32 v12, 0x3fb8aa3b, v9
	v_mul_f32_e32 v13, 0x3fb8aa3b, v11
	v_fma_f32 v14, v9, s2, -v12
	v_rndne_f32_e32 v15, v12
	v_fma_f32 v16, v11, s2, -v13
	v_rndne_f32_e32 v17, v13
	v_fmac_f32_e32 v14, 0x32a5705f, v9
	v_sub_f32_e32 v12, v12, v15
	v_fmac_f32_e32 v16, 0x32a5705f, v11
	v_sub_f32_e32 v13, v13, v17
	v_add_f32_e32 v12, v12, v14
	v_cvt_i32_f32_e32 v15, v15
	v_add_f32_e32 v13, v13, v16
	v_exp_f32_e32 v12, v12
	v_cvt_i32_f32_e32 v17, v17
	v_exp_f32_e32 v13, v13
	v_cmp_ngt_f32_e32 vcc, s16, v9
	v_ldexp_f32 v12, v12, v15
	v_cndmask_b32_e32 v12, 0, v12, vcc
	v_ldexp_f32 v13, v13, v17
	v_cmp_ngt_f32_e32 vcc, s16, v11
	v_cndmask_b32_e32 v13, 0, v13, vcc
	v_cmp_nlt_f32_e32 vcc, s17, v9
	v_cndmask_b32_e32 v12, v5, v12, vcc
	v_cmp_nlt_f32_e32 vcc, s17, v11
	v_cndmask_b32_e32 v13, v5, v13, vcc
	v_cmp_le_f32_e32 vcc, s23, v9
	v_cndmask_b32_e32 v12, 0, v12, vcc
	v_cmp_le_f32_e32 vcc, s23, v11
	v_cndmask_b32_e32 v11, 0, v13, vcc
	v_mul_f32_e32 v9, s9, v11
	v_fmac_f32_e32 v9, v6, v12
	s_waitcnt vmcnt(0)
	v_mul_f32_e32 v10, v10, v11
	v_fmac_f32_e32 v10, v3, v12
	s_cbranch_execnz .LBB3_13
.LBB3_17:
	s_add_i32 s5, s24, -1
	s_mov_b32 s7, s10
	v_mov_b32_e32 v9, v6
	v_mov_b32_e32 v8, v7
	s_waitcnt vmcnt(0)
	v_mov_b32_e32 v10, v3
	s_cbranch_execz .LBB3_22
.LBB3_18:
	s_mov_b32 s10, s7
	s_mov_b32 s24, s5
	v_mov_b32_e32 v6, v9
	v_mov_b32_e32 v7, v8
	s_waitcnt vmcnt(0)
	v_mov_b32_e32 v3, v10
	s_mul_hi_i32 s5, s24, s3
	s_cmp_lg_u64 s[4:5], 0
	s_mul_i32 s8, s24, s3
	s_cbranch_scc1 .LBB3_9
.LBB3_19:
                                        ; implicit-def: $sgpr6_sgpr7
	s_branch .LBB3_10
.LBB3_20:
                                        ; implicit-def: $sgpr10_sgpr11
	s_load_dwordx4 s[12:15], s[4:5], 0x44
	s_branch .LBB3_2
.LBB3_21:
                                        ; implicit-def: $sgpr18_sgpr19
	s_branch .LBB3_5
.LBB3_22:
	v_div_scale_f32 v0, s[0:1], v9, v9, v10
	s_waitcnt vmcnt(0)
	v_div_scale_f32 v3, vcc, v10, v9, v10
	v_rcp_f32_e32 v4, v0
	v_fma_f32 v5, -v0, v4, 1.0
	v_fmac_f32_e32 v4, v5, v4
	v_mul_f32_e32 v5, v3, v4
	v_fma_f32 v6, -v0, v5, v3
	v_fmac_f32_e32 v5, v6, v4
	v_fma_f32 v0, -v0, v5, v3
	v_div_fmas_f32 v0, v0, v4, v5
	v_div_fixup_f32 v0, v0, v9, v10
	global_store_dword v[1:2], v0, off
.LBB3_23:
	s_endpgm
	.section	.rodata,"a",@progbits
	.p2align	6, 0x0
	.amdhsa_kernel _ZL33flash_attn_stream_k_fixup_generalILi128ELi2ELi16EEvPfPK15HIP_vector_typeIfLj2EEiiiiS1_IjLj3EES5_S5_S5_
		.amdhsa_group_segment_fixed_size 0
		.amdhsa_private_segment_fixed_size 0
		.amdhsa_kernarg_size 336
		.amdhsa_user_sgpr_count 6
		.amdhsa_user_sgpr_private_segment_buffer 1
		.amdhsa_user_sgpr_dispatch_ptr 0
		.amdhsa_user_sgpr_queue_ptr 0
		.amdhsa_user_sgpr_kernarg_segment_ptr 1
		.amdhsa_user_sgpr_dispatch_id 0
		.amdhsa_user_sgpr_flat_scratch_init 0
		.amdhsa_user_sgpr_private_segment_size 0
		.amdhsa_uses_dynamic_stack 0
		.amdhsa_system_sgpr_private_segment_wavefront_offset 0
		.amdhsa_system_sgpr_workgroup_id_x 1
		.amdhsa_system_sgpr_workgroup_id_y 1
		.amdhsa_system_sgpr_workgroup_id_z 1
		.amdhsa_system_sgpr_workgroup_info 0
		.amdhsa_system_vgpr_workitem_id 0
		.amdhsa_next_free_vgpr 18
		.amdhsa_next_free_sgpr 36
		.amdhsa_reserve_vcc 1
		.amdhsa_reserve_flat_scratch 0
		.amdhsa_float_round_mode_32 0
		.amdhsa_float_round_mode_16_64 0
		.amdhsa_float_denorm_mode_32 3
		.amdhsa_float_denorm_mode_16_64 3
		.amdhsa_dx10_clamp 1
		.amdhsa_ieee_mode 1
		.amdhsa_fp16_overflow 0
		.amdhsa_exception_fp_ieee_invalid_op 0
		.amdhsa_exception_fp_denorm_src 0
		.amdhsa_exception_fp_ieee_div_zero 0
		.amdhsa_exception_fp_ieee_overflow 0
		.amdhsa_exception_fp_ieee_underflow 0
		.amdhsa_exception_fp_ieee_inexact 0
		.amdhsa_exception_int_div_zero 0
	.end_amdhsa_kernel
	.section	.text._ZL33flash_attn_stream_k_fixup_generalILi128ELi2ELi16EEvPfPK15HIP_vector_typeIfLj2EEiiiiS1_IjLj3EES5_S5_S5_,"axG",@progbits,_ZL33flash_attn_stream_k_fixup_generalILi128ELi2ELi16EEvPfPK15HIP_vector_typeIfLj2EEiiiiS1_IjLj3EES5_S5_S5_,comdat
.Lfunc_end3:
	.size	_ZL33flash_attn_stream_k_fixup_generalILi128ELi2ELi16EEvPfPK15HIP_vector_typeIfLj2EEiiiiS1_IjLj3EES5_S5_S5_, .Lfunc_end3-_ZL33flash_attn_stream_k_fixup_generalILi128ELi2ELi16EEvPfPK15HIP_vector_typeIfLj2EEiiiiS1_IjLj3EES5_S5_S5_
                                        ; -- End function
	.set _ZL33flash_attn_stream_k_fixup_generalILi128ELi2ELi16EEvPfPK15HIP_vector_typeIfLj2EEiiiiS1_IjLj3EES5_S5_S5_.num_vgpr, 18
	.set _ZL33flash_attn_stream_k_fixup_generalILi128ELi2ELi16EEvPfPK15HIP_vector_typeIfLj2EEiiiiS1_IjLj3EES5_S5_S5_.num_agpr, 0
	.set _ZL33flash_attn_stream_k_fixup_generalILi128ELi2ELi16EEvPfPK15HIP_vector_typeIfLj2EEiiiiS1_IjLj3EES5_S5_S5_.numbered_sgpr, 36
	.set _ZL33flash_attn_stream_k_fixup_generalILi128ELi2ELi16EEvPfPK15HIP_vector_typeIfLj2EEiiiiS1_IjLj3EES5_S5_S5_.num_named_barrier, 0
	.set _ZL33flash_attn_stream_k_fixup_generalILi128ELi2ELi16EEvPfPK15HIP_vector_typeIfLj2EEiiiiS1_IjLj3EES5_S5_S5_.private_seg_size, 0
	.set _ZL33flash_attn_stream_k_fixup_generalILi128ELi2ELi16EEvPfPK15HIP_vector_typeIfLj2EEiiiiS1_IjLj3EES5_S5_S5_.uses_vcc, 1
	.set _ZL33flash_attn_stream_k_fixup_generalILi128ELi2ELi16EEvPfPK15HIP_vector_typeIfLj2EEiiiiS1_IjLj3EES5_S5_S5_.uses_flat_scratch, 0
	.set _ZL33flash_attn_stream_k_fixup_generalILi128ELi2ELi16EEvPfPK15HIP_vector_typeIfLj2EEiiiiS1_IjLj3EES5_S5_S5_.has_dyn_sized_stack, 0
	.set _ZL33flash_attn_stream_k_fixup_generalILi128ELi2ELi16EEvPfPK15HIP_vector_typeIfLj2EEiiiiS1_IjLj3EES5_S5_S5_.has_recursion, 0
	.set _ZL33flash_attn_stream_k_fixup_generalILi128ELi2ELi16EEvPfPK15HIP_vector_typeIfLj2EEiiiiS1_IjLj3EES5_S5_S5_.has_indirect_call, 0
	.section	.AMDGPU.csdata,"",@progbits
; Kernel info:
; codeLenInByte = 2940
; TotalNumSgprs: 40
; NumVgprs: 18
; ScratchSize: 0
; MemoryBound: 0
; FloatMode: 240
; IeeeMode: 1
; LDSByteSize: 0 bytes/workgroup (compile time only)
; SGPRBlocks: 4
; VGPRBlocks: 4
; NumSGPRsForWavesPerEU: 40
; NumVGPRsForWavesPerEU: 18
; Occupancy: 10
; WaveLimiterHint : 0
; COMPUTE_PGM_RSRC2:SCRATCH_EN: 0
; COMPUTE_PGM_RSRC2:USER_SGPR: 6
; COMPUTE_PGM_RSRC2:TRAP_HANDLER: 0
; COMPUTE_PGM_RSRC2:TGID_X_EN: 1
; COMPUTE_PGM_RSRC2:TGID_Y_EN: 1
; COMPUTE_PGM_RSRC2:TGID_Z_EN: 1
; COMPUTE_PGM_RSRC2:TIDIG_COMP_CNT: 0
	.section	.text._ZL26flash_attn_combine_resultsILi128EEvPKfPK15HIP_vector_typeIfLj2EEPfi,"axG",@progbits,_ZL26flash_attn_combine_resultsILi128EEvPKfPK15HIP_vector_typeIfLj2EEPfi,comdat
	.globl	_ZL26flash_attn_combine_resultsILi128EEvPKfPK15HIP_vector_typeIfLj2EEPfi ; -- Begin function _ZL26flash_attn_combine_resultsILi128EEvPKfPK15HIP_vector_typeIfLj2EEPfi
	.p2align	8
	.type	_ZL26flash_attn_combine_resultsILi128EEvPKfPK15HIP_vector_typeIfLj2EEPfi,@function
_ZL26flash_attn_combine_resultsILi128EEvPKfPK15HIP_vector_typeIfLj2EEPfi: ; @_ZL26flash_attn_combine_resultsILi128EEvPKfPK15HIP_vector_typeIfLj2EEPfi
; %bb.0:
	s_load_dwordx2 s[12:13], s[4:5], 0x20
	s_load_dword s9, s[4:5], 0x18
	s_load_dwordx4 s[0:3], s[4:5], 0x0
	s_load_dwordx2 s[10:11], s[4:5], 0x10
	v_lshlrev_b32_e32 v4, 2, v0
	s_waitcnt lgkmcnt(0)
	s_mul_i32 s4, s12, s8
	s_add_i32 s4, s4, s6
	s_mul_i32 s8, s4, s13
	s_add_i32 s8, s8, s7
	s_lshl_b32 s12, s9, 1
	s_mul_i32 s4, s8, s9
	v_cmp_gt_i32_e32 vcc, s12, v0
	s_and_saveexec_b64 s[6:7], vcc
	s_cbranch_execz .LBB4_3
; %bb.1:
	s_ashr_i32 s5, s4, 31
	s_lshl_b64 s[14:15], s[4:5], 3
	s_add_u32 s2, s2, s14
	s_addc_u32 s3, s3, s15
	v_mov_b32_e32 v2, s3
	v_add_co_u32_e32 v1, vcc, s2, v4
	v_addc_co_u32_e32 v2, vcc, 0, v2, vcc
	v_add_u32_e32 v3, 0, v4
	s_mov_b64 s[2:3], 0
	v_mov_b32_e32 v5, v0
.LBB4_2:                                ; =>This Inner Loop Header: Depth=1
	global_load_dword v6, v[1:2], off
	v_add_co_u32_e32 v1, vcc, 0x200, v1
	v_add_u32_e32 v5, 0x80, v5
	v_addc_co_u32_e32 v2, vcc, 0, v2, vcc
	v_cmp_le_i32_e32 vcc, s12, v5
	s_or_b64 s[2:3], vcc, s[2:3]
	s_waitcnt vmcnt(0)
	ds_write_b32 v3, v6
	v_add_u32_e32 v3, 0x200, v3
	s_andn2_b64 exec, exec, s[2:3]
	s_cbranch_execnz .LBB4_2
.LBB4_3:
	s_or_b64 exec, exec, s[6:7]
	v_mov_b32_e32 v1, 0
	s_waitcnt lgkmcnt(0)
	s_barrier
	ds_read_b32 v5, v1
	s_cmp_lt_i32 s9, 2
	s_cbranch_scc1 .LBB4_11
; %bb.4:
	s_add_i32 s2, s9, -1
	s_add_i32 s3, s9, -2
	s_cmp_lt_u32 s3, 7
	s_cbranch_scc1 .LBB4_8
; %bb.5:
	s_mov_b32 s6, 0
	s_add_i32 s3, 0, 8
	s_and_b32 s5, s2, -8
.LBB4_6:                                ; =>This Inner Loop Header: Depth=1
	v_mov_b32_e32 v3, s3
	ds_read2_b32 v[1:2], v3 offset1:2
	ds_read2_b32 v[6:7], v3 offset0:4 offset1:6
	ds_read2_b32 v[8:9], v3 offset0:8 offset1:10
	;; [unrolled: 1-line block ×3, first 2 shown]
	s_mov_b32 s7, s6
	s_waitcnt lgkmcnt(3)
	v_max3_f32 v1, v5, v1, v2
	s_waitcnt lgkmcnt(2)
	v_max3_f32 v1, v1, v6, v7
	s_add_i32 s3, s3, 64
	s_add_i32 s6, s6, 8
	s_waitcnt lgkmcnt(1)
	v_max3_f32 v1, v1, v8, v9
	s_cmp_eq_u32 s5, s6
	s_waitcnt lgkmcnt(0)
	v_max3_f32 v5, v1, v10, v11
	s_cbranch_scc0 .LBB4_6
; %bb.7:
	s_add_i32 s3, s7, 9
	s_and_b32 s2, s2, 7
	s_cmp_eq_u32 s2, 0
	s_cbranch_scc0 .LBB4_9
	s_branch .LBB4_11
.LBB4_8:
	s_mov_b32 s3, 1
	s_and_b32 s2, s2, 7
	s_cmp_eq_u32 s2, 0
	s_cbranch_scc1 .LBB4_11
.LBB4_9:
	s_lshl_b32 s3, s3, 3
	s_add_i32 s3, s3, 0
.LBB4_10:                               ; =>This Inner Loop Header: Depth=1
	v_mov_b32_e32 v1, s3
	ds_read_b32 v1, v1
	s_waitcnt lgkmcnt(1)
	v_max_f32_e32 v2, v5, v5
	s_add_i32 s3, s3, 8
	s_add_i32 s2, s2, -1
	s_cmp_lg_u32 s2, 0
	s_waitcnt lgkmcnt(0)
	v_max_f32_e32 v1, v1, v1
	v_max_f32_e32 v5, v2, v1
	s_cbranch_scc1 .LBB4_10
.LBB4_11:
	s_cmp_lt_i32 s9, 1
	s_cbranch_scc1 .LBB4_16
; %bb.12:
	s_lshl_b32 s2, s4, 7
	s_ashr_i32 s3, s2, 31
	s_lshl_b64 s[2:3], s[2:3], 2
	s_add_u32 s0, s0, s2
	s_addc_u32 s1, s1, s3
	s_cmp_lt_u32 s9, 8
	s_cbranch_scc1 .LBB4_17
; %bb.13:
	s_and_b32 s2, s9, 0x7ffffff8
	v_or_b32_e32 v1, 0x380, v0
	s_mov_b32 s3, 0
	v_mov_b32_e32 v3, 0
	v_mov_b32_e32 v6, 0
	s_mov_b32 s4, 0x3fb8aa3b
	s_mov_b32 s5, 0xc2ce8ed0
	;; [unrolled: 1-line block ×3, first 2 shown]
	v_mov_b32_e32 v8, 0x7f800000
	v_mov_b32_e32 v9, s1
	s_mov_b32 s7, 0
	v_mov_b32_e32 v7, 0
.LBB4_14:                               ; =>This Inner Loop Header: Depth=1
	v_mov_b32_e32 v16, s3
	ds_read2_b64 v[10:13], v16 offset1:1
	s_add_i32 s7, s7, 8
	s_add_i32 s3, s3, 64
	s_cmp_eq_u32 s2, s7
	s_waitcnt lgkmcnt(0)
	v_sub_f32_e32 v2, v10, v5
	v_mul_f32_e32 v10, 0x3fb8aa3b, v2
	v_fma_f32 v14, v2, s4, -v10
	v_rndne_f32_e32 v15, v10
	v_fmac_f32_e32 v14, 0x32a5705f, v2
	v_sub_f32_e32 v10, v10, v15
	v_add_f32_e32 v10, v10, v14
	v_exp_f32_e32 v10, v10
	v_cvt_i32_f32_e32 v14, v15
	v_cmp_ngt_f32_e32 vcc, s5, v2
	v_ldexp_f32 v10, v10, v14
	v_cndmask_b32_e32 v10, 0, v10, vcc
	v_cmp_nlt_f32_e32 vcc, s6, v2
	v_add_u32_e32 v2, 0xfffffc80, v1
	v_lshlrev_b64 v[14:15], 2, v[2:3]
	v_cndmask_b32_e32 v10, v8, v10, vcc
	v_add_co_u32_e32 v14, vcc, s0, v14
	v_addc_co_u32_e32 v15, vcc, v9, v15, vcc
	global_load_dword v2, v[14:15], off
	v_fmac_f32_e32 v7, v10, v11
	s_waitcnt vmcnt(0)
	v_fmac_f32_e32 v6, v2, v10
	v_sub_f32_e32 v2, v12, v5
	v_mul_f32_e32 v10, 0x3fb8aa3b, v2
	v_fma_f32 v11, v2, s4, -v10
	v_rndne_f32_e32 v12, v10
	v_fmac_f32_e32 v11, 0x32a5705f, v2
	v_sub_f32_e32 v10, v10, v12
	v_add_f32_e32 v10, v10, v11
	v_exp_f32_e32 v10, v10
	v_cvt_i32_f32_e32 v11, v12
	v_cmp_ngt_f32_e32 vcc, s5, v2
	v_ldexp_f32 v10, v10, v11
	v_cndmask_b32_e32 v10, 0, v10, vcc
	v_cmp_nlt_f32_e32 vcc, s6, v2
	v_add_u32_e32 v2, 0xfffffd00, v1
	v_cndmask_b32_e32 v12, v8, v10, vcc
	v_lshlrev_b64 v[10:11], 2, v[2:3]
	v_fmac_f32_e32 v7, v12, v13
	v_add_co_u32_e32 v10, vcc, s0, v10
	v_addc_co_u32_e32 v11, vcc, v9, v11, vcc
	global_load_dword v2, v[10:11], off
	s_waitcnt vmcnt(0)
	v_fmac_f32_e32 v6, v2, v12
	ds_read2_b64 v[10:13], v16 offset0:2 offset1:3
	s_waitcnt lgkmcnt(0)
	v_sub_f32_e32 v2, v10, v5
	v_mul_f32_e32 v10, 0x3fb8aa3b, v2
	v_fma_f32 v14, v2, s4, -v10
	v_rndne_f32_e32 v15, v10
	v_fmac_f32_e32 v14, 0x32a5705f, v2
	v_sub_f32_e32 v10, v10, v15
	v_add_f32_e32 v10, v10, v14
	v_exp_f32_e32 v10, v10
	v_cvt_i32_f32_e32 v14, v15
	v_cmp_ngt_f32_e32 vcc, s5, v2
	v_ldexp_f32 v10, v10, v14
	v_cndmask_b32_e32 v10, 0, v10, vcc
	v_cmp_nlt_f32_e32 vcc, s6, v2
	v_add_u32_e32 v2, 0xfffffd80, v1
	v_lshlrev_b64 v[14:15], 2, v[2:3]
	v_cndmask_b32_e32 v10, v8, v10, vcc
	v_add_co_u32_e32 v14, vcc, s0, v14
	v_addc_co_u32_e32 v15, vcc, v9, v15, vcc
	global_load_dword v2, v[14:15], off
	v_fmac_f32_e32 v7, v10, v11
	s_waitcnt vmcnt(0)
	v_fmac_f32_e32 v6, v2, v10
	v_sub_f32_e32 v2, v12, v5
	v_mul_f32_e32 v10, 0x3fb8aa3b, v2
	v_fma_f32 v11, v2, s4, -v10
	v_rndne_f32_e32 v12, v10
	v_fmac_f32_e32 v11, 0x32a5705f, v2
	v_sub_f32_e32 v10, v10, v12
	v_add_f32_e32 v10, v10, v11
	v_exp_f32_e32 v10, v10
	v_cvt_i32_f32_e32 v11, v12
	v_cmp_ngt_f32_e32 vcc, s5, v2
	v_ldexp_f32 v10, v10, v11
	v_cndmask_b32_e32 v10, 0, v10, vcc
	v_cmp_nlt_f32_e32 vcc, s6, v2
	v_add_u32_e32 v2, 0xfffffe00, v1
	v_cndmask_b32_e32 v12, v8, v10, vcc
	v_lshlrev_b64 v[10:11], 2, v[2:3]
	v_fmac_f32_e32 v7, v12, v13
	v_add_co_u32_e32 v10, vcc, s0, v10
	v_addc_co_u32_e32 v11, vcc, v9, v11, vcc
	global_load_dword v2, v[10:11], off
	s_waitcnt vmcnt(0)
	v_fmac_f32_e32 v6, v2, v12
	ds_read2_b64 v[10:13], v16 offset0:4 offset1:5
	s_waitcnt lgkmcnt(0)
	v_sub_f32_e32 v2, v10, v5
	v_mul_f32_e32 v10, 0x3fb8aa3b, v2
	v_fma_f32 v14, v2, s4, -v10
	v_rndne_f32_e32 v15, v10
	v_fmac_f32_e32 v14, 0x32a5705f, v2
	v_sub_f32_e32 v10, v10, v15
	v_add_f32_e32 v10, v10, v14
	v_exp_f32_e32 v10, v10
	v_cvt_i32_f32_e32 v14, v15
	v_cmp_ngt_f32_e32 vcc, s5, v2
	v_ldexp_f32 v10, v10, v14
	v_cndmask_b32_e32 v10, 0, v10, vcc
	v_cmp_nlt_f32_e32 vcc, s6, v2
	v_add_u32_e32 v2, 0xfffffe80, v1
	v_lshlrev_b64 v[14:15], 2, v[2:3]
	v_cndmask_b32_e32 v10, v8, v10, vcc
	v_add_co_u32_e32 v14, vcc, s0, v14
	v_addc_co_u32_e32 v15, vcc, v9, v15, vcc
	global_load_dword v2, v[14:15], off
	v_fmac_f32_e32 v7, v10, v11
	s_waitcnt vmcnt(0)
	v_fmac_f32_e32 v6, v2, v10
	v_sub_f32_e32 v2, v12, v5
	v_mul_f32_e32 v10, 0x3fb8aa3b, v2
	v_fma_f32 v11, v2, s4, -v10
	v_rndne_f32_e32 v12, v10
	v_fmac_f32_e32 v11, 0x32a5705f, v2
	v_sub_f32_e32 v10, v10, v12
	v_add_f32_e32 v10, v10, v11
	v_exp_f32_e32 v10, v10
	v_cvt_i32_f32_e32 v11, v12
	v_cmp_ngt_f32_e32 vcc, s5, v2
	v_ldexp_f32 v10, v10, v11
	v_cndmask_b32_e32 v10, 0, v10, vcc
	v_cmp_nlt_f32_e32 vcc, s6, v2
	v_add_u32_e32 v2, 0xffffff00, v1
	v_cndmask_b32_e32 v12, v8, v10, vcc
	v_lshlrev_b64 v[10:11], 2, v[2:3]
	v_fmac_f32_e32 v7, v12, v13
	v_add_co_u32_e32 v10, vcc, s0, v10
	v_addc_co_u32_e32 v11, vcc, v9, v11, vcc
	global_load_dword v2, v[10:11], off
	s_waitcnt vmcnt(0)
	v_fmac_f32_e32 v6, v2, v12
	ds_read2_b64 v[10:13], v16 offset0:6 offset1:7
	s_waitcnt lgkmcnt(0)
	v_sub_f32_e32 v2, v10, v5
	v_mul_f32_e32 v10, 0x3fb8aa3b, v2
	v_fma_f32 v14, v2, s4, -v10
	v_rndne_f32_e32 v15, v10
	v_fmac_f32_e32 v14, 0x32a5705f, v2
	v_sub_f32_e32 v10, v10, v15
	v_add_f32_e32 v10, v10, v14
	v_exp_f32_e32 v10, v10
	v_cvt_i32_f32_e32 v14, v15
	v_cmp_ngt_f32_e32 vcc, s5, v2
	v_ldexp_f32 v10, v10, v14
	v_cndmask_b32_e32 v10, 0, v10, vcc
	v_cmp_nlt_f32_e32 vcc, s6, v2
	v_add_u32_e32 v2, 0xffffff80, v1
	v_lshlrev_b64 v[14:15], 2, v[2:3]
	v_cndmask_b32_e32 v10, v8, v10, vcc
	v_add_co_u32_e32 v14, vcc, s0, v14
	v_addc_co_u32_e32 v15, vcc, v9, v15, vcc
	global_load_dword v2, v[14:15], off
	v_fmac_f32_e32 v7, v10, v11
	s_waitcnt vmcnt(0)
	v_fmac_f32_e32 v6, v2, v10
	v_sub_f32_e32 v2, v12, v5
	v_mul_f32_e32 v10, 0x3fb8aa3b, v2
	v_fma_f32 v11, v2, s4, -v10
	v_rndne_f32_e32 v12, v10
	v_fmac_f32_e32 v11, 0x32a5705f, v2
	v_sub_f32_e32 v10, v10, v12
	v_add_f32_e32 v10, v10, v11
	v_exp_f32_e32 v10, v10
	v_cvt_i32_f32_e32 v11, v12
	v_cmp_ngt_f32_e32 vcc, s5, v2
	v_ldexp_f32 v10, v10, v11
	v_cndmask_b32_e32 v10, 0, v10, vcc
	v_cmp_nlt_f32_e32 vcc, s6, v2
	v_mov_b32_e32 v2, v3
	v_cndmask_b32_e32 v12, v8, v10, vcc
	v_lshlrev_b64 v[10:11], 2, v[1:2]
	v_fmac_f32_e32 v7, v12, v13
	v_add_co_u32_e32 v10, vcc, s0, v10
	v_addc_co_u32_e32 v11, vcc, v9, v11, vcc
	global_load_dword v2, v[10:11], off
	v_add_u32_e32 v1, 0x400, v1
	s_waitcnt vmcnt(0)
	v_fmac_f32_e32 v6, v2, v12
	s_cbranch_scc0 .LBB4_14
; %bb.15:
	s_and_b32 s3, s9, 7
	s_cmp_eq_u32 s3, 0
	s_cbranch_scc0 .LBB4_18
	s_branch .LBB4_20
.LBB4_16:
	v_mov_b32_e32 v0, 0x7fc00000
	s_branch .LBB4_21
.LBB4_17:
	s_mov_b32 s2, 0
	v_mov_b32_e32 v6, 0
	v_mov_b32_e32 v7, 0
	s_and_b32 s3, s9, 7
	s_cmp_eq_u32 s3, 0
	s_cbranch_scc1 .LBB4_20
.LBB4_18:
	v_lshl_or_b32 v0, s2, 7, v0
	s_lshl_b32 s2, s2, 3
	s_add_i32 s2, s2, 0
	s_mov_b32 s4, 0x3fb8aa3b
	s_mov_b32 s5, 0xc2ce8ed0
	;; [unrolled: 1-line block ×3, first 2 shown]
	v_mov_b32_e32 v2, 0x7f800000
	v_mov_b32_e32 v1, 0
	;; [unrolled: 1-line block ×3, first 2 shown]
.LBB4_19:                               ; =>This Inner Loop Header: Depth=1
	v_lshlrev_b64 v[8:9], 2, v[0:1]
	s_add_i32 s3, s3, -1
	v_add_co_u32_e32 v8, vcc, s0, v8
	v_addc_co_u32_e32 v9, vcc, v3, v9, vcc
	global_load_dword v10, v[8:9], off
	v_mov_b32_e32 v8, s2
	ds_read_b64 v[8:9], v8
	s_add_i32 s2, s2, 8
	v_add_u32_e32 v0, 0x80, v0
	s_cmp_lg_u32 s3, 0
	s_waitcnt lgkmcnt(0)
	v_sub_f32_e32 v8, v8, v5
	v_mul_f32_e32 v11, 0x3fb8aa3b, v8
	v_fma_f32 v12, v8, s4, -v11
	v_rndne_f32_e32 v13, v11
	v_fmac_f32_e32 v12, 0x32a5705f, v8
	v_sub_f32_e32 v11, v11, v13
	v_add_f32_e32 v11, v11, v12
	v_cvt_i32_f32_e32 v13, v13
	v_exp_f32_e32 v11, v11
	v_cmp_ngt_f32_e32 vcc, s5, v8
	v_ldexp_f32 v11, v11, v13
	v_cndmask_b32_e32 v11, 0, v11, vcc
	v_cmp_nlt_f32_e32 vcc, s6, v8
	v_cndmask_b32_e32 v8, v2, v11, vcc
	v_fmac_f32_e32 v7, v8, v9
	s_waitcnt vmcnt(0)
	v_fmac_f32_e32 v6, v10, v8
	s_cbranch_scc1 .LBB4_19
.LBB4_20:
	v_div_scale_f32 v0, s[0:1], v7, v7, v6
	v_div_scale_f32 v1, vcc, v6, v7, v6
	v_rcp_f32_e32 v2, v0
	v_fma_f32 v3, -v0, v2, 1.0
	v_fmac_f32_e32 v2, v3, v2
	v_mul_f32_e32 v3, v1, v2
	s_waitcnt lgkmcnt(0)
	v_fma_f32 v5, -v0, v3, v1
	v_fmac_f32_e32 v3, v5, v2
	v_fma_f32 v0, -v0, v3, v1
	v_div_fmas_f32 v0, v0, v2, v3
	v_div_fixup_f32 v0, v0, v7, v6
.LBB4_21:
	s_lshl_b32 s0, s8, 7
	s_ashr_i32 s1, s0, 31
	s_lshl_b64 s[0:1], s[0:1], 2
	s_add_u32 s0, s10, s0
	s_addc_u32 s1, s11, s1
	global_store_dword v4, v0, s[0:1]
	s_endpgm
	.section	.rodata,"a",@progbits
	.p2align	6, 0x0
	.amdhsa_kernel _ZL26flash_attn_combine_resultsILi128EEvPKfPK15HIP_vector_typeIfLj2EEPfi
		.amdhsa_group_segment_fixed_size 0
		.amdhsa_private_segment_fixed_size 0
		.amdhsa_kernarg_size 288
		.amdhsa_user_sgpr_count 6
		.amdhsa_user_sgpr_private_segment_buffer 1
		.amdhsa_user_sgpr_dispatch_ptr 0
		.amdhsa_user_sgpr_queue_ptr 0
		.amdhsa_user_sgpr_kernarg_segment_ptr 1
		.amdhsa_user_sgpr_dispatch_id 0
		.amdhsa_user_sgpr_flat_scratch_init 0
		.amdhsa_user_sgpr_private_segment_size 0
		.amdhsa_uses_dynamic_stack 0
		.amdhsa_system_sgpr_private_segment_wavefront_offset 0
		.amdhsa_system_sgpr_workgroup_id_x 1
		.amdhsa_system_sgpr_workgroup_id_y 1
		.amdhsa_system_sgpr_workgroup_id_z 1
		.amdhsa_system_sgpr_workgroup_info 0
		.amdhsa_system_vgpr_workitem_id 0
		.amdhsa_next_free_vgpr 17
		.amdhsa_next_free_sgpr 16
		.amdhsa_reserve_vcc 1
		.amdhsa_reserve_flat_scratch 0
		.amdhsa_float_round_mode_32 0
		.amdhsa_float_round_mode_16_64 0
		.amdhsa_float_denorm_mode_32 3
		.amdhsa_float_denorm_mode_16_64 3
		.amdhsa_dx10_clamp 1
		.amdhsa_ieee_mode 1
		.amdhsa_fp16_overflow 0
		.amdhsa_exception_fp_ieee_invalid_op 0
		.amdhsa_exception_fp_denorm_src 0
		.amdhsa_exception_fp_ieee_div_zero 0
		.amdhsa_exception_fp_ieee_overflow 0
		.amdhsa_exception_fp_ieee_underflow 0
		.amdhsa_exception_fp_ieee_inexact 0
		.amdhsa_exception_int_div_zero 0
	.end_amdhsa_kernel
	.section	.text._ZL26flash_attn_combine_resultsILi128EEvPKfPK15HIP_vector_typeIfLj2EEPfi,"axG",@progbits,_ZL26flash_attn_combine_resultsILi128EEvPKfPK15HIP_vector_typeIfLj2EEPfi,comdat
.Lfunc_end4:
	.size	_ZL26flash_attn_combine_resultsILi128EEvPKfPK15HIP_vector_typeIfLj2EEPfi, .Lfunc_end4-_ZL26flash_attn_combine_resultsILi128EEvPKfPK15HIP_vector_typeIfLj2EEPfi
                                        ; -- End function
	.set _ZL26flash_attn_combine_resultsILi128EEvPKfPK15HIP_vector_typeIfLj2EEPfi.num_vgpr, 17
	.set _ZL26flash_attn_combine_resultsILi128EEvPKfPK15HIP_vector_typeIfLj2EEPfi.num_agpr, 0
	.set _ZL26flash_attn_combine_resultsILi128EEvPKfPK15HIP_vector_typeIfLj2EEPfi.numbered_sgpr, 16
	.set _ZL26flash_attn_combine_resultsILi128EEvPKfPK15HIP_vector_typeIfLj2EEPfi.num_named_barrier, 0
	.set _ZL26flash_attn_combine_resultsILi128EEvPKfPK15HIP_vector_typeIfLj2EEPfi.private_seg_size, 0
	.set _ZL26flash_attn_combine_resultsILi128EEvPKfPK15HIP_vector_typeIfLj2EEPfi.uses_vcc, 1
	.set _ZL26flash_attn_combine_resultsILi128EEvPKfPK15HIP_vector_typeIfLj2EEPfi.uses_flat_scratch, 0
	.set _ZL26flash_attn_combine_resultsILi128EEvPKfPK15HIP_vector_typeIfLj2EEPfi.has_dyn_sized_stack, 0
	.set _ZL26flash_attn_combine_resultsILi128EEvPKfPK15HIP_vector_typeIfLj2EEPfi.has_recursion, 0
	.set _ZL26flash_attn_combine_resultsILi128EEvPKfPK15HIP_vector_typeIfLj2EEPfi.has_indirect_call, 0
	.section	.AMDGPU.csdata,"",@progbits
; Kernel info:
; codeLenInByte = 1908
; TotalNumSgprs: 20
; NumVgprs: 17
; ScratchSize: 0
; MemoryBound: 0
; FloatMode: 240
; IeeeMode: 1
; LDSByteSize: 0 bytes/workgroup (compile time only)
; SGPRBlocks: 2
; VGPRBlocks: 4
; NumSGPRsForWavesPerEU: 20
; NumVGPRsForWavesPerEU: 17
; Occupancy: 10
; WaveLimiterHint : 0
; COMPUTE_PGM_RSRC2:SCRATCH_EN: 0
; COMPUTE_PGM_RSRC2:USER_SGPR: 6
; COMPUTE_PGM_RSRC2:TRAP_HANDLER: 0
; COMPUTE_PGM_RSRC2:TGID_X_EN: 1
; COMPUTE_PGM_RSRC2:TGID_Y_EN: 1
; COMPUTE_PGM_RSRC2:TGID_Z_EN: 1
; COMPUTE_PGM_RSRC2:TIDIG_COMP_CNT: 0
	.section	.text._ZL15flash_attn_tileILi192ELi128ELi1ELi16ELb0EEvPKcS1_S1_S1_S1_PKiPfP15HIP_vector_typeIfLj2EEffffjfiS5_IjLj3EEiiiiiiiiiiiliiliiiiil,"axG",@progbits,_ZL15flash_attn_tileILi192ELi128ELi1ELi16ELb0EEvPKcS1_S1_S1_S1_PKiPfP15HIP_vector_typeIfLj2EEffffjfiS5_IjLj3EEiiiiiiiiiiiliiliiiiil,comdat
	.globl	_ZL15flash_attn_tileILi192ELi128ELi1ELi16ELb0EEvPKcS1_S1_S1_S1_PKiPfP15HIP_vector_typeIfLj2EEffffjfiS5_IjLj3EEiiiiiiiiiiiliiliiiiil ; -- Begin function _ZL15flash_attn_tileILi192ELi128ELi1ELi16ELb0EEvPKcS1_S1_S1_S1_PKiPfP15HIP_vector_typeIfLj2EEffffjfiS5_IjLj3EEiiiiiiiiiiiliiliiiiil
	.p2align	8
	.type	_ZL15flash_attn_tileILi192ELi128ELi1ELi16ELb0EEvPKcS1_S1_S1_S1_PKiPfP15HIP_vector_typeIfLj2EEffffjfiS5_IjLj3EEiiiiiiiiiiiliiliiiiil,@function
_ZL15flash_attn_tileILi192ELi128ELi1ELi16ELb0EEvPKcS1_S1_S1_S1_PKiPfP15HIP_vector_typeIfLj2EEffffjfiS5_IjLj3EEiiiiiiiiiiiliiliiiiil: ; @_ZL15flash_attn_tileILi192ELi128ELi1ELi16ELb0EEvPKcS1_S1_S1_S1_PKiPfP15HIP_vector_typeIfLj2EEffffjfiS5_IjLj3EEiiiiiiiiiiiliiliiiiil
; %bb.0:
	s_load_dwordx4 s[24:27], s[4:5], 0x5c
	s_load_dwordx2 s[28:29], s[4:5], 0x80
	s_mov_b64 s[30:31], 0
	s_waitcnt lgkmcnt(0)
	s_ashr_i32 s0, s27, 31
	s_lshr_b32 s0, s0, 28
	s_add_i32 s0, s27, s0
	s_ashr_i32 s0, s0, 4
	v_cvt_f32_u32_e32 v2, s0
	s_sub_i32 s1, 0, s0
	v_rcp_iflag_f32_e32 v2, v2
	v_mul_f32_e32 v2, 0x4f7ffffe, v2
	v_cvt_u32_f32_e32 v2, v2
	v_readfirstlane_b32 s2, v2
	s_mul_i32 s1, s1, s2
	s_mul_hi_u32 s1, s2, s1
	s_add_i32 s2, s2, s1
	s_mul_hi_u32 s1, s8, s2
	s_mul_i32 s2, s1, s0
	s_sub_i32 s2, s8, s2
	s_add_i32 s3, s1, 1
	s_sub_i32 s9, s2, s0
	s_cmp_ge_u32 s2, s0
	s_cselect_b32 s1, s3, s1
	s_cselect_b32 s2, s9, s2
	s_add_i32 s3, s1, 1
	s_cmp_ge_u32 s2, s0
	s_cselect_b32 s33, s3, s1
	s_abs_i32 s0, s29
	v_cvt_f32_u32_e32 v2, s0
	s_lshl_b32 s1, s8, 4
	s_mul_i32 s8, s33, s27
	s_xor_b32 s2, s27, s29
	v_rcp_iflag_f32_e32 v2, v2
	s_sub_i32 s9, 0, s0
	s_sub_i32 s29, s1, s8
	s_abs_i32 s3, s27
	v_mul_f32_e32 v2, 0x4f7ffffe, v2
	v_cvt_u32_f32_e32 v2, v2
	s_ashr_i32 s2, s2, 31
	v_readfirstlane_b32 s1, v2
	s_mul_i32 s9, s9, s1
	s_mul_hi_u32 s8, s1, s9
	s_add_i32 s1, s1, s8
	s_mul_hi_u32 s1, s3, s1
	s_mul_i32 s8, s1, s0
	s_sub_i32 s3, s3, s8
	s_add_i32 s9, s1, 1
	s_sub_i32 s8, s3, s0
	s_cmp_ge_u32 s3, s0
	s_cselect_b32 s1, s9, s1
	s_cselect_b32 s3, s8, s3
	s_add_i32 s8, s1, 1
	s_cmp_ge_u32 s3, s0
	s_cselect_b32 s0, s8, s1
	s_xor_b32 s0, s0, s2
	s_sub_i32 s35, s0, s2
	s_abs_i32 s34, s35
	v_cvt_f32_u32_e32 v2, s34
	s_load_dwordx16 s[8:23], s[4:5], 0x0
	s_load_dwordx2 s[2:3], s[4:5], 0xb8
	v_rcp_iflag_f32_e32 v2, v2
	s_waitcnt lgkmcnt(0)
	s_cmp_eq_u64 s[14:15], 0
	v_mul_f32_e32 v2, 0x4f7ffffe, v2
	v_cvt_u32_f32_e32 v2, v2
	v_readfirstlane_b32 s36, v2
	s_cbranch_scc1 .LBB5_2
; %bb.1:
	s_abs_i32 s2, s2
	v_cvt_f32_u32_e32 v2, s2
	s_sub_i32 s37, 0, s2
	s_abs_i32 s31, s33
	s_ashr_i32 s30, s33, 31
	v_rcp_iflag_f32_e32 v2, v2
	s_load_dwordx2 s[0:1], s[4:5], 0xc8
	v_mul_f32_e32 v2, 0x4f7ffffe, v2
	v_cvt_u32_f32_e32 v2, v2
	v_readfirstlane_b32 s38, v2
	s_mul_i32 s37, s37, s38
	s_mul_hi_u32 s37, s38, s37
	s_add_i32 s38, s38, s37
	s_mul_hi_u32 s37, s31, s38
	s_mul_i32 s37, s37, s2
	s_sub_i32 s31, s31, s37
	s_sub_i32 s37, s31, s2
	s_cmp_ge_u32 s31, s2
	s_cselect_b32 s31, s37, s31
	s_sub_i32 s37, s31, s2
	s_cmp_ge_u32 s31, s2
	s_cselect_b32 s2, s37, s31
	s_xor_b32 s2, s2, s30
	s_sub_i32 s2, s2, s30
	s_ashr_i32 s30, s2, 31
	s_waitcnt lgkmcnt(0)
	s_mul_hi_u32 s31, s0, s2
	s_mul_i32 s30, s0, s30
	s_mul_i32 s1, s1, s2
	s_add_i32 s30, s31, s30
	s_add_i32 s1, s30, s1
	s_mul_i32 s0, s0, s2
	s_add_u32 s30, s14, s0
	s_addc_u32 s31, s15, s1
.LBB5_2:
	v_lshrrev_b32_e32 v2, 3, v1
	s_load_dwordx4 s[40:43], s[4:5], 0x70
	v_add_u32_e32 v8, s6, v2
	v_mul_hi_u32 v2, s24, v8
	v_lshlrev_b32_e32 v18, 1, v1
	v_lshlrev_b32_e32 v9, 4, v0
	s_waitcnt lgkmcnt(0)
	s_mul_i32 s0, s33, s42
	v_add_u32_e32 v2, v8, v2
	s_ashr_i32 s2, s0, 31
	v_lshrrev_b32_e32 v2, s25, v2
	s_mul_i32 s1, s29, s41
	s_add_u32 s0, s8, s0
	v_mul_lo_u32 v2, v2, s26
	s_addc_u32 s2, s9, s2
	s_ashr_i32 s8, s1, 31
	s_add_u32 s24, s0, s1
	s_addc_u32 s2, s2, s8
	s_ashr_i32 s9, s41, 31
	s_mov_b32 s8, s41
	s_ashr_i32 s41, s40, 31
	v_sub_u32_e32 v4, v8, v2
	s_lshr_b64 s[0:1], s[40:41], 2
	v_mad_u64_u32 v[2:3], s[0:1], s0, v4, 0
	s_lshr_b32 s0, s41, 2
	v_mad_u64_u32 v[5:6], s[0:1], s0, v4, v[3:4]
	s_lshr_b64 s[0:1], s[8:9], 2
	v_and_b32_e32 v6, 14, v18
	v_mad_u64_u32 v[11:12], s[14:15], s0, v6, 0
	v_mov_b32_e32 v3, v5
	v_lshlrev_b64 v[2:3], 2, v[2:3]
	v_mov_b32_e32 v5, s2
	v_add_co_u32_e32 v7, vcc, s24, v2
	v_mov_b32_e32 v2, v12
	s_lshr_b32 s2, s9, 2
	v_addc_co_u32_e32 v5, vcc, v5, v3, vcc
	v_mad_u64_u32 v[2:3], s[8:9], s2, v6, v[2:3]
	v_add_co_u32_e32 v9, vcc, v7, v9
	v_mov_b32_e32 v12, v2
	v_lshlrev_b64 v[2:3], 2, v[11:12]
	v_addc_co_u32_e32 v10, vcc, 0, v5, vcc
	v_add_co_u32_e32 v2, vcc, v9, v2
	v_addc_co_u32_e32 v3, vcc, v10, v3, vcc
	global_load_dwordx4 v[11:14], v[2:3], off
	s_load_dword s2, s[4:5], 0x40
	v_lshlrev_b32_e32 v5, 3, v0
	s_movk_i32 s8, 0x300
	v_mul_u32_u24_e32 v7, 0x300, v1
	v_mad_u32_u24 v15, v1, s8, v5
	v_cmp_gt_u32_e32 vcc, 16, v0
	s_waitcnt vmcnt(0) lgkmcnt(0)
	v_fma_mixlo_f16 v11, s2, v11, 0
	v_fma_mixlo_f16 v12, s2, v12, 0
	;; [unrolled: 1-line block ×4, first 2 shown]
	v_lshlrev_b32_e32 v12, 16, v12
	v_and_b32_e32 v11, 0xffff, v11
	v_lshlrev_b32_e32 v14, 16, v14
	v_and_b32_e32 v13, 0xffff, v13
	v_or_b32_e32 v11, v12, v11
	v_or3_b32 v12, v14, v13, 0
	v_or3_b32 v11, 0, 0, v11
	ds_write_b64 v15, v[11:12]
	s_and_saveexec_b64 s[8:9], vcc
	s_cbranch_execz .LBB5_4
; %bb.3:
	global_load_dwordx4 v[11:14], v[2:3], off offset:512
	s_waitcnt vmcnt(0)
	v_fma_mixlo_f16 v2, s2, v11, 0
	v_fma_mixlo_f16 v3, s2, v12, 0
	v_fma_mixlo_f16 v11, s2, v13, 0
	v_fma_mixlo_f16 v12, s2, v14, 0
	v_lshlrev_b32_e32 v3, 16, v3
	v_and_b32_e32 v2, 0xffff, v2
	v_lshlrev_b32_e32 v12, 16, v12
	v_and_b32_e32 v11, 0xffff, v11
	v_or_b32_e32 v2, v3, v2
	v_or3_b32 v3, v12, v11, 0
	v_or3_b32 v2, 0, 0, v2
	v_add_u32_e32 v11, v5, v7
	ds_write_b64 v11, v[2:3] offset:256
.LBB5_4:
	s_or_b64 exec, exec, s[8:9]
	v_or_b32_e32 v11, 1, v18
	v_and_b32_e32 v12, 15, v11
	v_mad_u64_u32 v[2:3], s[8:9], s0, v12, 0
	v_mad_u64_u32 v[12:13], s[0:1], s1, v12, v[3:4]
	v_mov_b32_e32 v3, v12
	v_lshlrev_b64 v[2:3], 2, v[2:3]
	v_add_co_u32_e64 v2, s[0:1], v9, v2
	v_addc_co_u32_e64 v3, s[0:1], v10, v3, s[0:1]
	global_load_dwordx4 v[12:15], v[2:3], off
	s_movk_i32 s0, 0x180
	v_mad_u32_u24 v16, v11, s0, v5
	s_waitcnt vmcnt(0)
	v_fma_mixlo_f16 v9, s2, v12, 0
	v_fma_mixlo_f16 v10, s2, v13, 0
	;; [unrolled: 1-line block ×4, first 2 shown]
	v_lshlrev_b32_e32 v10, 16, v10
	v_and_b32_e32 v9, 0xffff, v9
	v_lshlrev_b32_e32 v13, 16, v13
	v_and_b32_e32 v12, 0xffff, v12
	v_or_b32_e32 v9, v10, v9
	v_or3_b32 v10, v13, v12, 0
	v_or3_b32 v9, 0, 0, v9
	ds_write_b64 v16, v[9:10]
	s_and_saveexec_b64 s[0:1], vcc
	s_cbranch_execz .LBB5_6
; %bb.5:
	global_load_dwordx4 v[12:15], v[2:3], off offset:512
	v_mul_u32_u24_e32 v9, 0x180, v11
	v_add_u32_e32 v9, v5, v9
	s_waitcnt vmcnt(0)
	v_fma_mixlo_f16 v2, s2, v12, 0
	v_fma_mixlo_f16 v3, s2, v13, 0
	;; [unrolled: 1-line block ×4, first 2 shown]
	v_lshlrev_b32_e32 v3, 16, v3
	v_and_b32_e32 v2, 0xffff, v2
	v_lshlrev_b32_e32 v11, 16, v11
	v_and_b32_e32 v10, 0xffff, v10
	v_or_b32_e32 v2, v3, v2
	v_or3_b32 v3, v11, v10, 0
	v_or3_b32 v2, 0, 0, v2
	ds_write_b64 v9, v[2:3] offset:256
.LBB5_6:
	s_or_b64 exec, exec, s[0:1]
	s_cmp_eq_u64 s[18:19], 0
	s_waitcnt lgkmcnt(0)
	s_barrier
	s_cbranch_scc1 .LBB5_8
; %bb.7:
	s_load_dword s0, s[4:5], 0xd0
	s_mov_b32 s1, 0
	s_waitcnt lgkmcnt(0)
	s_mul_i32 s0, s0, s33
	s_add_i32 s0, s0, s6
	s_lshl_b64 s[0:1], s[0:1], 2
	s_add_u32 s0, s18, s0
	s_addc_u32 s1, s19, s1
	s_load_dword s28, s[0:1], 0x0
.LBB5_8:
	s_lshl_b32 s6, s7, 5
	s_waitcnt lgkmcnt(0)
	s_cmp_lt_i32 s6, s28
	v_mbcnt_lo_u32_b32 v2, -1, 0
	s_cbranch_scc1 .LBB5_11
; %bb.9:
	v_mbcnt_hi_u32_b32 v9, -1, v2
	v_and_b32_e32 v3, 0x60, v9
	v_add_u32_e32 v11, 32, v3
	v_xor_b32_e32 v17, 16, v9
	v_xor_b32_e32 v15, 8, v9
	;; [unrolled: 1-line block ×5, first 2 shown]
	v_lshlrev_b32_e32 v10, 2, v0
	s_cbranch_execz .LBB5_12
; %bb.10:
	v_mov_b32_e32 v34, 0
	v_mov_b32_e32 v18, 0
	;; [unrolled: 1-line block ×8, first 2 shown]
	s_branch .LBB5_14
.LBB5_11:
                                        ; implicit-def: $vgpr9
                                        ; implicit-def: $vgpr11
                                        ; implicit-def: $vgpr17
                                        ; implicit-def: $vgpr15
                                        ; implicit-def: $vgpr14
                                        ; implicit-def: $vgpr13
                                        ; implicit-def: $vgpr12
	v_lshlrev_b32_e32 v10, 2, v0
.LBB5_12:
	s_sub_i32 s0, 0, s34
	s_mul_i32 s0, s0, s36
	s_mul_hi_u32 s0, s36, s0
	s_add_i32 s8, s36, s0
	s_load_dwordx2 s[0:1], s[4:5], 0x8c
	s_load_dwordx4 s[36:39], s[4:5], 0x98
	s_ashr_i32 s18, s35, 31
	s_abs_i32 s2, s29
	s_ashr_i32 s15, s29, 31
	s_waitcnt lgkmcnt(0)
	s_ashr_i32 s25, s0, 2
	s_ashr_i32 s0, s33, 31
	s_mul_hi_u32 s19, s36, s33
	s_mul_i32 s35, s36, s0
	s_add_i32 s19, s19, s35
	s_mul_i32 s35, s37, s33
	s_ashr_i32 s24, s38, 2
	s_ashr_i32 s3, s3, 1
	s_add_i32 s19, s19, s35
	s_mul_i32 s35, s36, s33
	s_mul_hi_u32 s14, s2, s8
	s_add_u32 s10, s10, s35
	s_addc_u32 s11, s11, s19
	s_xor_b32 s15, s15, s18
	s_mul_i32 s18, s14, s34
	s_sub_i32 s2, s2, s18
	s_add_i32 s18, s14, 1
	s_sub_i32 s19, s2, s34
	s_cmp_ge_u32 s2, s34
	s_cselect_b32 s14, s18, s14
	s_cselect_b32 s2, s19, s2
	s_add_i32 s18, s14, 1
	s_cmp_ge_u32 s2, s34
	s_cselect_b32 s2, s18, s14
	s_load_dwordx2 s[8:9], s[4:5], 0xa8
	s_xor_b32 s2, s2, s15
	s_sub_i32 s2, s2, s15
	s_mul_i32 s1, s2, s1
	s_ashr_i32 s14, s1, 31
	s_add_u32 s1, s10, s1
	s_addc_u32 s10, s11, s14
	s_waitcnt lgkmcnt(0)
	s_mul_hi_u32 s11, s8, s33
	s_mul_i32 s0, s8, s0
	s_add_i32 s0, s11, s0
	s_mul_i32 s9, s9, s33
	v_lshrrev_b32_e32 v3, 3, v0
	s_add_i32 s0, s0, s9
	s_mul_i32 s8, s8, s33
	v_lshl_add_u32 v3, v1, 2, v3
	s_add_u32 s8, s12, s8
	s_mul_i32 s2, s2, s39
	v_mul_lo_u32 v11, s25, v3
	s_addc_u32 s0, s13, s0
	s_ashr_i32 s9, s2, 31
	s_add_u32 s2, s8, s2
	v_and_b32_e32 v9, 28, v10
	s_addc_u32 s8, s0, s9
	v_mul_u32_u24_e32 v12, 0x90, v3
	v_lshlrev_b32_e32 v3, 2, v9
	s_movk_i32 s9, 0x1800
	v_add3_u32 v19, v12, v3, s9
	v_ashrrev_i32_e32 v12, 31, v11
	v_lshlrev_b64 v[11:12], 2, v[11:12]
	v_mov_b32_e32 v9, s10
	v_add_co_u32_e32 v11, vcc, s1, v11
	v_addc_co_u32_e32 v9, vcc, v9, v12, vcc
	s_movk_i32 s0, 0x90
	v_add_co_u32_e32 v20, vcc, v11, v3
	v_mov_b32_e32 v3, 0x1800
	v_mad_u32_u24 v22, v0, s0, v3
	v_mad_u64_u32 v[3:4], s[0:1], v4, s3, v[0:1]
	v_mov_b32_e32 v4, 0x2a00
	v_lshl_add_u32 v23, v1, 7, v4
	v_lshrrev_b32_e32 v1, 4, v0
	v_add_u32_e32 v1, v1, v18
	v_mul_lo_u32 v11, s24, v1
	v_and_b32_e32 v4, 60, v10
	v_lshlrev_b32_e32 v4, 2, v4
	v_addc_co_u32_e32 v21, vcc, 0, v9, vcc
	v_ashrrev_i32_e32 v12, 31, v11
	v_lshlrev_b64 v[11:12], 2, v[11:12]
	v_lshl_or_b32 v1, v1, 8, v4
	v_add_u32_e32 v24, 0x1800, v1
	v_mov_b32_e32 v1, s8
	v_add_co_u32_e32 v9, vcc, s2, v11
	v_addc_co_u32_e32 v1, vcc, v1, v12, vcc
	v_add_co_u32_e32 v25, vcc, v9, v4
	v_mbcnt_hi_u32_b32 v9, -1, v2
	s_add_u32 s14, s4, 0xd0
	v_and_b32_e32 v2, 0x60, v9
	v_mov_b32_e32 v16, 0
	v_addc_co_u32_e32 v26, vcc, 0, v1, vcc
	s_addc_u32 s15, s5, 0
	v_mov_b32_e32 v1, 0xfeffffff
	v_mov_b32_e32 v32, 0
	;; [unrolled: 1-line block ×3, first 2 shown]
	v_add_u32_e32 v11, 32, v2
	v_xor_b32_e32 v17, 16, v9
	v_xor_b32_e32 v15, 8, v9
	;; [unrolled: 1-line block ×5, first 2 shown]
	s_mov_b32 s31, 0x3fb8aa3b
	s_mov_b32 s34, 0xc2ce8ed0
	;; [unrolled: 1-line block ×3, first 2 shown]
	v_mov_b32_e32 v28, 0x7f800000
	s_mov_b32 s36, 0x10001
	v_add_u32_e32 v29, v23, v10
	v_add_u32_e32 v30, 0x1800, v5
	;; [unrolled: 1-line block ×3, first 2 shown]
	v_mov_b32_e32 v33, 0
	v_mov_b32_e32 v35, 0
	;; [unrolled: 1-line block ×5, first 2 shown]
.LBB5_13:                               ; =>This Inner Loop Header: Depth=1
	s_mul_hi_i32 s1, s6, s25
	s_mul_i32 s0, s6, s25
	s_lshl_b64 s[0:1], s[0:1], 2
	v_mov_b32_e32 v4, s1
	v_add_co_u32_e32 v48, vcc, s0, v20
	v_addc_co_u32_e32 v49, vcc, v21, v4, vcc
	global_load_dwordx4 v[36:39], v[48:49], off
	v_mov_b32_e32 v4, 0
	v_mov_b32_e32 v5, 0
	v_cmp_lt_i32_e64 s[8:9], v17, v11
	v_cmp_lt_i32_e64 s[10:11], v15, v11
	;; [unrolled: 1-line block ×4, first 2 shown]
	v_cmp_lt_i32_e32 vcc, v12, v11
	s_mul_hi_i32 s19, s6, s24
	s_mul_i32 s18, s6, s24
	s_waitcnt vmcnt(0)
	ds_write_b128 v19, v[36:39]
	s_waitcnt lgkmcnt(0)
	s_barrier
	ds_read_b128 v[36:39], v22
	ds_read_b128 v[40:43], v7
	ds_read_b128 v[44:47], v7 offset:384
	s_waitcnt lgkmcnt(1)
	;;#ASMSTART
	v_dot2_f32_f16 v4, v36, v40, v4
	;;#ASMEND
	;;#ASMSTART
	v_dot2_f32_f16 v4, v37, v41, v4
	;;#ASMEND
	;;#ASMSTART
	v_dot2_f32_f16 v4, v38, v42, v4
	;;#ASMEND
	;;#ASMSTART
	v_dot2_f32_f16 v4, v39, v43, v4
	;;#ASMEND
	s_waitcnt lgkmcnt(0)
	;;#ASMSTART
	v_dot2_f32_f16 v5, v36, v44, v5
	;;#ASMEND
	;;#ASMSTART
	v_dot2_f32_f16 v5, v37, v45, v5
	;;#ASMEND
	;;#ASMSTART
	v_dot2_f32_f16 v5, v38, v46, v5
	;;#ASMEND
	;;#ASMSTART
	v_dot2_f32_f16 v5, v39, v47, v5
	;;#ASMEND
	ds_read_b128 v[36:39], v22 offset:16
	ds_read_b128 v[40:43], v7 offset:16
	ds_read_b128 v[44:47], v7 offset:400
	s_waitcnt lgkmcnt(1)
	;;#ASMSTART
	v_dot2_f32_f16 v4, v36, v40, v4
	;;#ASMEND
	;;#ASMSTART
	v_dot2_f32_f16 v4, v37, v41, v4
	;;#ASMEND
	;;#ASMSTART
	v_dot2_f32_f16 v4, v38, v42, v4
	;;#ASMEND
	;;#ASMSTART
	v_dot2_f32_f16 v4, v39, v43, v4
	;;#ASMEND
	s_waitcnt lgkmcnt(0)
	;;#ASMSTART
	v_dot2_f32_f16 v5, v36, v44, v5
	;;#ASMEND
	;;#ASMSTART
	v_dot2_f32_f16 v5, v37, v45, v5
	;;#ASMEND
	;;#ASMSTART
	v_dot2_f32_f16 v5, v38, v46, v5
	;;#ASMEND
	;;#ASMSTART
	v_dot2_f32_f16 v5, v39, v47, v5
	;;#ASMEND
	ds_read_b128 v[36:39], v22 offset:32
	ds_read_b128 v[40:43], v7 offset:32
	;; [unrolled: 29-line block ×7, first 2 shown]
	ds_read_b128 v[44:47], v7 offset:496
	s_waitcnt lgkmcnt(1)
	;;#ASMSTART
	v_dot2_f32_f16 v4, v36, v40, v4
	;;#ASMEND
	;;#ASMSTART
	v_dot2_f32_f16 v4, v37, v41, v4
	;;#ASMEND
	;; [unrolled: 3-line block ×4, first 2 shown]
	s_waitcnt lgkmcnt(0)
	;;#ASMSTART
	v_dot2_f32_f16 v5, v36, v44, v5
	;;#ASMEND
	;;#ASMSTART
	v_dot2_f32_f16 v5, v37, v45, v5
	;;#ASMEND
	;;#ASMSTART
	v_dot2_f32_f16 v5, v38, v46, v5
	;;#ASMEND
	;;#ASMSTART
	v_dot2_f32_f16 v5, v39, v47, v5
	;;#ASMEND
	s_barrier
	global_load_dwordx4 v[36:39], v[48:49], off offset:128
	s_waitcnt vmcnt(0)
	ds_write_b128 v19, v[36:39]
	s_waitcnt lgkmcnt(0)
	s_barrier
	ds_read_b128 v[36:39], v22
	ds_read_b128 v[40:43], v7 offset:128
	ds_read_b128 v[44:47], v7 offset:512
	s_waitcnt lgkmcnt(1)
	;;#ASMSTART
	v_dot2_f32_f16 v4, v36, v40, v4
	;;#ASMEND
	;;#ASMSTART
	v_dot2_f32_f16 v4, v37, v41, v4
	;;#ASMEND
	;;#ASMSTART
	v_dot2_f32_f16 v4, v38, v42, v4
	;;#ASMEND
	;;#ASMSTART
	v_dot2_f32_f16 v4, v39, v43, v4
	;;#ASMEND
	s_waitcnt lgkmcnt(0)
	;;#ASMSTART
	v_dot2_f32_f16 v5, v36, v44, v5
	;;#ASMEND
	;;#ASMSTART
	v_dot2_f32_f16 v5, v37, v45, v5
	;;#ASMEND
	;;#ASMSTART
	v_dot2_f32_f16 v5, v38, v46, v5
	;;#ASMEND
	;;#ASMSTART
	v_dot2_f32_f16 v5, v39, v47, v5
	;;#ASMEND
	ds_read_b128 v[36:39], v22 offset:16
	ds_read_b128 v[40:43], v7 offset:144
	ds_read_b128 v[44:47], v7 offset:528
	s_waitcnt lgkmcnt(1)
	;;#ASMSTART
	v_dot2_f32_f16 v4, v36, v40, v4
	;;#ASMEND
	;;#ASMSTART
	v_dot2_f32_f16 v4, v37, v41, v4
	;;#ASMEND
	;;#ASMSTART
	v_dot2_f32_f16 v4, v38, v42, v4
	;;#ASMEND
	;;#ASMSTART
	v_dot2_f32_f16 v4, v39, v43, v4
	;;#ASMEND
	s_waitcnt lgkmcnt(0)
	;;#ASMSTART
	v_dot2_f32_f16 v5, v36, v44, v5
	;;#ASMEND
	;;#ASMSTART
	v_dot2_f32_f16 v5, v37, v45, v5
	;;#ASMEND
	;;#ASMSTART
	v_dot2_f32_f16 v5, v38, v46, v5
	;;#ASMEND
	;;#ASMSTART
	v_dot2_f32_f16 v5, v39, v47, v5
	;;#ASMEND
	ds_read_b128 v[36:39], v22 offset:32
	;; [unrolled: 29-line block ×7, first 2 shown]
	ds_read_b128 v[40:43], v7 offset:240
	ds_read_b128 v[44:47], v7 offset:624
	s_waitcnt lgkmcnt(1)
	;;#ASMSTART
	v_dot2_f32_f16 v4, v36, v40, v4
	;;#ASMEND
	;;#ASMSTART
	v_dot2_f32_f16 v4, v37, v41, v4
	;;#ASMEND
	;; [unrolled: 3-line block ×4, first 2 shown]
	s_waitcnt lgkmcnt(0)
	;;#ASMSTART
	v_dot2_f32_f16 v5, v36, v44, v5
	;;#ASMEND
	;;#ASMSTART
	v_dot2_f32_f16 v5, v37, v45, v5
	;;#ASMEND
	;; [unrolled: 3-line block ×4, first 2 shown]
	s_barrier
	global_load_dwordx4 v[36:39], v[48:49], off offset:256
	s_waitcnt vmcnt(0)
	ds_write_b128 v19, v[36:39]
	s_waitcnt lgkmcnt(0)
	s_barrier
	ds_read_b128 v[36:39], v22
	ds_read_b128 v[40:43], v7 offset:256
	ds_read_b128 v[44:47], v7 offset:640
	s_waitcnt lgkmcnt(1)
	;;#ASMSTART
	v_dot2_f32_f16 v4, v36, v40, v4
	;;#ASMEND
	;;#ASMSTART
	v_dot2_f32_f16 v4, v37, v41, v4
	;;#ASMEND
	;;#ASMSTART
	v_dot2_f32_f16 v4, v38, v42, v4
	;;#ASMEND
	;;#ASMSTART
	v_dot2_f32_f16 v4, v39, v43, v4
	;;#ASMEND
	s_waitcnt lgkmcnt(0)
	;;#ASMSTART
	v_dot2_f32_f16 v5, v36, v44, v5
	;;#ASMEND
	;;#ASMSTART
	v_dot2_f32_f16 v5, v37, v45, v5
	;;#ASMEND
	;;#ASMSTART
	v_dot2_f32_f16 v5, v38, v46, v5
	;;#ASMEND
	;;#ASMSTART
	v_dot2_f32_f16 v5, v39, v47, v5
	;;#ASMEND
	ds_read_b128 v[36:39], v22 offset:16
	ds_read_b128 v[40:43], v7 offset:272
	ds_read_b128 v[44:47], v7 offset:656
	s_waitcnt lgkmcnt(1)
	;;#ASMSTART
	v_dot2_f32_f16 v4, v36, v40, v4
	;;#ASMEND
	;;#ASMSTART
	v_dot2_f32_f16 v4, v37, v41, v4
	;;#ASMEND
	;;#ASMSTART
	v_dot2_f32_f16 v4, v38, v42, v4
	;;#ASMEND
	;;#ASMSTART
	v_dot2_f32_f16 v4, v39, v43, v4
	;;#ASMEND
	s_waitcnt lgkmcnt(0)
	;;#ASMSTART
	v_dot2_f32_f16 v5, v36, v44, v5
	;;#ASMEND
	;;#ASMSTART
	v_dot2_f32_f16 v5, v37, v45, v5
	;;#ASMEND
	;;#ASMSTART
	v_dot2_f32_f16 v5, v38, v46, v5
	;;#ASMEND
	;;#ASMSTART
	v_dot2_f32_f16 v5, v39, v47, v5
	;;#ASMEND
	ds_read_b128 v[36:39], v22 offset:32
	;; [unrolled: 29-line block ×7, first 2 shown]
	ds_read_b128 v[40:43], v7 offset:368
	ds_read_b128 v[44:47], v7 offset:752
	s_waitcnt lgkmcnt(1)
	;;#ASMSTART
	v_dot2_f32_f16 v4, v36, v40, v4
	;;#ASMEND
	;;#ASMSTART
	v_dot2_f32_f16 v4, v37, v41, v4
	;;#ASMEND
	;; [unrolled: 3-line block ×4, first 2 shown]
	s_waitcnt lgkmcnt(0)
	;;#ASMSTART
	v_dot2_f32_f16 v5, v36, v44, v5
	;;#ASMEND
	;;#ASMSTART
	v_dot2_f32_f16 v5, v37, v45, v5
	;;#ASMEND
	;; [unrolled: 3-line block ×4, first 2 shown]
	v_mov_b32_e32 v39, v1
	v_add_u32_e32 v1, s6, v3
	v_mov_b32_e32 v38, v2
	v_ashrrev_i32_e32 v2, 31, v1
	v_lshlrev_b64 v[1:2], 1, v[1:2]
	v_cndmask_b32_e64 v36, v9, v17, s[8:9]
	v_add_co_u32_e64 v1, s[12:13], s30, v1
	v_addc_co_u32_e64 v2, s[12:13], v27, v2, s[12:13]
	global_load_ushort v1, v[1:2], off
	v_max_f32_e32 v37, v39, v39
	v_max_f32_e32 v2, v38, v38
	v_lshlrev_b32_e32 v36, 2, v36
	s_waitcnt vmcnt(0)
	s_barrier
	v_cvt_f32_f16_e32 v1, v1
	v_add_f32_e32 v40, v4, v1
	v_add_f32_e32 v41, v5, v1
	;; [unrolled: 1-line block ×3, first 2 shown]
	v_max_f32_e32 v1, v37, v1
	v_add_f32_e32 v4, 0x40051340, v41
	v_max_f32_e32 v2, v2, v4
	ds_bpermute_b32 v4, v36, v1
	ds_bpermute_b32 v5, v36, v2
	s_waitcnt lgkmcnt(1)
	v_max_f32_e32 v4, v4, v4
	v_max_f32_e32 v1, v1, v4
	v_cndmask_b32_e64 v4, v9, v15, s[10:11]
	v_lshlrev_b32_e32 v4, 2, v4
	s_waitcnt lgkmcnt(0)
	v_max_f32_e32 v5, v5, v5
	v_max_f32_e32 v2, v2, v5
	ds_bpermute_b32 v5, v4, v1
	ds_bpermute_b32 v4, v4, v2
	s_waitcnt lgkmcnt(1)
	v_max_f32_e32 v5, v5, v5
	v_max_f32_e32 v1, v1, v5
	v_cndmask_b32_e64 v5, v9, v14, s[2:3]
	v_lshlrev_b32_e32 v5, 2, v5
	s_waitcnt lgkmcnt(0)
	v_max_f32_e32 v4, v4, v4
	;; [unrolled: 10-line block ×3, first 2 shown]
	v_max_f32_e32 v2, v2, v5
	ds_bpermute_b32 v5, v4, v1
	ds_bpermute_b32 v4, v4, v2
	s_lshl_b64 s[0:1], s[18:19], 2
	s_waitcnt lgkmcnt(1)
	v_max_f32_e32 v5, v5, v5
	v_max_f32_e32 v1, v1, v5
	v_cndmask_b32_e32 v5, v9, v12, vcc
	v_lshlrev_b32_e32 v5, 2, v5
	s_waitcnt lgkmcnt(0)
	v_max_f32_e32 v4, v4, v4
	v_max_f32_e32 v2, v2, v4
	ds_bpermute_b32 v4, v5, v1
	ds_bpermute_b32 v5, v5, v2
	s_waitcnt lgkmcnt(1)
	v_max_f32_e32 v4, v4, v4
	v_max_f32_e32 v1, v1, v4
	s_waitcnt lgkmcnt(0)
	v_max_f32_e32 v5, v5, v5
	v_sub_f32_e32 v36, v40, v1
	v_max_f32_e32 v2, v2, v5
	v_mov_b32_e32 v5, s1
	v_add_co_u32_e32 v4, vcc, s0, v25
	v_mul_f32_e32 v37, 0x3fb8aa3b, v36
	v_addc_co_u32_e32 v5, vcc, v26, v5, vcc
	v_fma_f32 v40, v36, s31, -v37
	v_cmp_ngt_f32_e64 s[0:1], s34, v36
	v_cmp_nlt_f32_e32 vcc, s35, v36
	v_fmac_f32_e32 v40, 0x32a5705f, v36
	v_sub_f32_e32 v36, v41, v2
	v_mul_f32_e32 v41, 0x3fb8aa3b, v36
	v_fma_f32 v42, v36, s31, -v41
	v_cmp_ngt_f32_e64 s[8:9], s34, v36
	v_cmp_nlt_f32_e64 s[2:3], s35, v36
	v_fmac_f32_e32 v42, 0x32a5705f, v36
	v_rndne_f32_e32 v36, v37
	v_sub_f32_e32 v37, v37, v36
	v_add_f32_e32 v37, v37, v40
	v_cvt_i32_f32_e32 v36, v36
	v_exp_f32_e32 v37, v37
	v_rndne_f32_e32 v40, v41
	v_sub_f32_e32 v41, v41, v40
	v_add_f32_e32 v41, v41, v42
	v_ldexp_f32 v37, v37, v36
	v_cvt_i32_f32_e32 v36, v40
	v_exp_f32_e32 v40, v41
	v_ldexp_f32 v40, v40, v36
	v_mov_b32_e32 v36, v16
	v_cndmask_b32_e64 v16, 0, v37, s[0:1]
	v_cndmask_b32_e64 v37, 0, v40, s[8:9]
	v_cndmask_b32_e32 v16, v28, v16, vcc
	v_cndmask_b32_e64 v37, v28, v37, s[2:3]
	v_cvt_f16_f32_e32 v40, v16
	v_cvt_f16_f32_e32 v41, v37
	v_pack_b32_f16 v40, v40, v41
	ds_write_b32 v29, v40
	global_load_dwordx4 v[40:43], v[4:5], off
	v_sub_f32_e32 v4, v39, v1
	v_sub_f32_e32 v5, v38, v2
	v_mul_f32_e32 v38, 0x3fb8aa3b, v4
	v_fma_f32 v39, v4, s31, -v38
	v_cmp_ngt_f32_e32 vcc, s34, v4
	v_cmp_nlt_f32_e64 s[0:1], s35, v4
	v_fmac_f32_e32 v39, 0x32a5705f, v4
	v_mul_f32_e32 v4, 0x3fb8aa3b, v5
	v_cmp_ngt_f32_e64 s[2:3], s34, v5
	v_cmp_nlt_f32_e64 s[8:9], s35, v5
	s_waitcnt vmcnt(0)
	ds_write_b128 v24, v[40:43]
	v_fma_f32 v40, v5, s31, -v4
	v_fmac_f32_e32 v40, 0x32a5705f, v5
	v_rndne_f32_e32 v5, v38
	v_sub_f32_e32 v38, v38, v5
	v_add_f32_e32 v38, v38, v39
	v_rndne_f32_e32 v39, v4
	v_sub_f32_e32 v4, v4, v39
	v_add_f32_e32 v4, v4, v40
	v_cvt_i32_f32_e32 v5, v5
	v_exp_f32_e32 v38, v38
	v_cvt_i32_f32_e32 v39, v39
	v_exp_f32_e32 v4, v4
	s_waitcnt lgkmcnt(0)
	v_ldexp_f32 v5, v38, v5
	v_cndmask_b32_e32 v5, 0, v5, vcc
	v_ldexp_f32 v4, v4, v39
	s_barrier
	ds_read_b128 v[39:42], v23
	v_cndmask_b32_e64 v38, v28, v5, s[0:1]
	ds_read2_b64 v[43:46], v30 offset1:32
	v_cvt_f16_f32_e32 v5, v38
	v_cndmask_b32_e64 v4, 0, v4, s[2:3]
	s_waitcnt lgkmcnt(1)
	v_mul_u32_u24_sdwa v47, v39, s36 dst_sel:DWORD dst_unused:UNUSED_PAD src0_sel:WORD_0 src1_sel:DWORD
	s_or_b32 s0, s6, 16
	v_mul_u32_u24_e32 v5, 0x10001, v5
	s_waitcnt lgkmcnt(0)
	v_pk_mul_f16 v48, v43, v47
	v_pk_fma_f16 v48, v34, v5, v48
	v_cndmask_b32_e64 v34, v28, v4, s[8:9]
	v_cvt_f16_f32_e32 v4, v34
	v_pk_mul_f16 v5, v35, v5
	v_mul_u32_u24_sdwa v35, v39, s36 dst_sel:DWORD dst_unused:UNUSED_PAD src0_sel:WORD_1 src1_sel:DWORD
	v_pk_mul_f16 v39, v43, v35
	v_mul_u32_u24_e32 v4, 0x10001, v4
	v_pk_fma_f16 v33, v33, v4, v39
	v_pk_mul_f16 v4, v32, v4
	v_pk_fma_f16 v5, v44, v47, v5
	v_pk_fma_f16 v4, v44, v35, v4
	v_mul_u32_u24_sdwa v32, v40, s36 dst_sel:DWORD dst_unused:UNUSED_PAD src0_sel:WORD_0 src1_sel:DWORD
	v_mul_u32_u24_sdwa v35, v40, s36 dst_sel:DWORD dst_unused:UNUSED_PAD src0_sel:WORD_1 src1_sel:DWORD
	v_pk_fma_f16 v5, v46, v32, v5
	v_pk_fma_f16 v32, v45, v32, v48
	;; [unrolled: 1-line block ×4, first 2 shown]
	v_mul_u32_u24_sdwa v35, v41, s36 dst_sel:DWORD dst_unused:UNUSED_PAD src0_sel:WORD_0 src1_sel:DWORD
	v_mul_u32_u24_sdwa v43, v41, s36 dst_sel:DWORD dst_unused:UNUSED_PAD src0_sel:WORD_1 src1_sel:DWORD
	v_mul_u32_u24_sdwa v44, v42, s36 dst_sel:DWORD dst_unused:UNUSED_PAD src0_sel:WORD_0 src1_sel:DWORD
	v_mul_u32_u24_sdwa v45, v42, s36 dst_sel:DWORD dst_unused:UNUSED_PAD src0_sel:WORD_1 src1_sel:DWORD
	ds_read2_b64 v[39:42], v30 offset0:64 offset1:96
	s_mul_hi_i32 s1, s0, s24
	s_mul_i32 s0, s0, s24
	s_lshl_b64 s[0:1], s[0:1], 2
	v_fmac_f32_e32 v16, v36, v38
	s_waitcnt lgkmcnt(0)
	v_pk_fma_f16 v5, v40, v35, v5
	v_pk_fma_f16 v32, v39, v35, v32
	;; [unrolled: 1-line block ×8, first 2 shown]
	ds_read_b128 v[39:42], v23 offset:16
	ds_read2_b64 v[43:46], v30 offset0:128 offset1:160
	s_waitcnt lgkmcnt(1)
	v_mul_u32_u24_sdwa v35, v39, s36 dst_sel:DWORD dst_unused:UNUSED_PAD src0_sel:WORD_0 src1_sel:DWORD
	s_waitcnt lgkmcnt(0)
	v_pk_fma_f16 v5, v44, v35, v5
	v_pk_fma_f16 v32, v43, v35, v32
	v_mul_u32_u24_sdwa v35, v39, s36 dst_sel:DWORD dst_unused:UNUSED_PAD src0_sel:WORD_1 src1_sel:DWORD
	v_pk_fma_f16 v4, v44, v35, v4
	v_pk_fma_f16 v33, v43, v35, v33
	v_mul_u32_u24_sdwa v35, v40, s36 dst_sel:DWORD dst_unused:UNUSED_PAD src0_sel:WORD_0 src1_sel:DWORD
	v_pk_fma_f16 v5, v46, v35, v5
	v_pk_fma_f16 v32, v45, v35, v32
	v_mul_u32_u24_sdwa v35, v40, s36 dst_sel:DWORD dst_unused:UNUSED_PAD src0_sel:WORD_1 src1_sel:DWORD
	v_pk_fma_f16 v4, v46, v35, v4
	v_pk_fma_f16 v33, v45, v35, v33
	v_mul_u32_u24_sdwa v35, v41, s36 dst_sel:DWORD dst_unused:UNUSED_PAD src0_sel:WORD_0 src1_sel:DWORD
	v_mul_u32_u24_sdwa v43, v41, s36 dst_sel:DWORD dst_unused:UNUSED_PAD src0_sel:WORD_1 src1_sel:DWORD
	v_mul_u32_u24_sdwa v44, v42, s36 dst_sel:DWORD dst_unused:UNUSED_PAD src0_sel:WORD_0 src1_sel:DWORD
	v_mul_u32_u24_sdwa v45, v42, s36 dst_sel:DWORD dst_unused:UNUSED_PAD src0_sel:WORD_1 src1_sel:DWORD
	ds_read2_b64 v[39:42], v30 offset0:192 offset1:224
	s_waitcnt lgkmcnt(0)
	v_pk_fma_f16 v5, v40, v35, v5
	v_pk_fma_f16 v32, v39, v35, v32
	;; [unrolled: 1-line block ×8, first 2 shown]
	ds_read_b128 v[39:42], v23 offset:32
	ds_read2_b64 v[43:46], v31 offset1:32
	s_waitcnt lgkmcnt(1)
	v_mul_u32_u24_sdwa v35, v39, s36 dst_sel:DWORD dst_unused:UNUSED_PAD src0_sel:WORD_0 src1_sel:DWORD
	s_waitcnt lgkmcnt(0)
	v_pk_fma_f16 v5, v44, v35, v5
	v_pk_fma_f16 v32, v43, v35, v32
	v_mul_u32_u24_sdwa v35, v39, s36 dst_sel:DWORD dst_unused:UNUSED_PAD src0_sel:WORD_1 src1_sel:DWORD
	v_pk_fma_f16 v4, v44, v35, v4
	v_pk_fma_f16 v33, v43, v35, v33
	v_mul_u32_u24_sdwa v35, v40, s36 dst_sel:DWORD dst_unused:UNUSED_PAD src0_sel:WORD_0 src1_sel:DWORD
	v_pk_fma_f16 v5, v46, v35, v5
	v_pk_fma_f16 v32, v45, v35, v32
	v_mul_u32_u24_sdwa v35, v40, s36 dst_sel:DWORD dst_unused:UNUSED_PAD src0_sel:WORD_1 src1_sel:DWORD
	v_pk_fma_f16 v4, v46, v35, v4
	v_pk_fma_f16 v33, v45, v35, v33
	v_mul_u32_u24_sdwa v35, v41, s36 dst_sel:DWORD dst_unused:UNUSED_PAD src0_sel:WORD_0 src1_sel:DWORD
	v_mul_u32_u24_sdwa v43, v41, s36 dst_sel:DWORD dst_unused:UNUSED_PAD src0_sel:WORD_1 src1_sel:DWORD
	v_mul_u32_u24_sdwa v44, v42, s36 dst_sel:DWORD dst_unused:UNUSED_PAD src0_sel:WORD_0 src1_sel:DWORD
	v_mul_u32_u24_sdwa v45, v42, s36 dst_sel:DWORD dst_unused:UNUSED_PAD src0_sel:WORD_1 src1_sel:DWORD
	ds_read2_b64 v[39:42], v31 offset0:64 offset1:96
	s_waitcnt lgkmcnt(0)
	v_pk_fma_f16 v5, v40, v35, v5
	v_pk_fma_f16 v32, v39, v35, v32
	;; [unrolled: 1-line block ×8, first 2 shown]
	ds_read_b128 v[39:42], v23 offset:48
	ds_read2_b64 v[43:46], v31 offset0:128 offset1:160
	s_waitcnt lgkmcnt(1)
	v_mul_u32_u24_sdwa v35, v39, s36 dst_sel:DWORD dst_unused:UNUSED_PAD src0_sel:WORD_0 src1_sel:DWORD
	s_waitcnt lgkmcnt(0)
	v_pk_fma_f16 v5, v44, v35, v5
	v_pk_fma_f16 v32, v43, v35, v32
	v_mul_u32_u24_sdwa v35, v39, s36 dst_sel:DWORD dst_unused:UNUSED_PAD src0_sel:WORD_1 src1_sel:DWORD
	v_pk_fma_f16 v4, v44, v35, v4
	v_pk_fma_f16 v33, v43, v35, v33
	v_mul_u32_u24_sdwa v35, v40, s36 dst_sel:DWORD dst_unused:UNUSED_PAD src0_sel:WORD_0 src1_sel:DWORD
	v_pk_fma_f16 v5, v46, v35, v5
	v_pk_fma_f16 v32, v45, v35, v32
	v_mul_u32_u24_sdwa v35, v40, s36 dst_sel:DWORD dst_unused:UNUSED_PAD src0_sel:WORD_1 src1_sel:DWORD
	v_pk_fma_f16 v4, v46, v35, v4
	v_pk_fma_f16 v33, v45, v35, v33
	v_mul_u32_u24_sdwa v35, v41, s36 dst_sel:DWORD dst_unused:UNUSED_PAD src0_sel:WORD_0 src1_sel:DWORD
	v_mul_u32_u24_sdwa v43, v41, s36 dst_sel:DWORD dst_unused:UNUSED_PAD src0_sel:WORD_1 src1_sel:DWORD
	v_mul_u32_u24_sdwa v44, v42, s36 dst_sel:DWORD dst_unused:UNUSED_PAD src0_sel:WORD_0 src1_sel:DWORD
	v_mul_u32_u24_sdwa v45, v42, s36 dst_sel:DWORD dst_unused:UNUSED_PAD src0_sel:WORD_1 src1_sel:DWORD
	ds_read2_b64 v[39:42], v31 offset0:192 offset1:224
	s_waitcnt lgkmcnt(0)
	s_barrier
	v_pk_fma_f16 v5, v40, v35, v5
	v_pk_fma_f16 v32, v39, v35, v32
	;; [unrolled: 1-line block ×7, first 2 shown]
	v_mov_b32_e32 v5, s1
	v_add_co_u32_e32 v4, vcc, s0, v25
	v_addc_co_u32_e32 v5, vcc, v26, v5, vcc
	v_pk_fma_f16 v35, v41, v45, v35
	global_load_dwordx4 v[40:43], v[4:5], off
	s_waitcnt vmcnt(0)
	ds_write_b128 v24, v[40:43]
	s_waitcnt lgkmcnt(0)
	s_barrier
	ds_read_b128 v[40:43], v23 offset:64
	ds_read2_b64 v[44:47], v30 offset1:32
	s_waitcnt lgkmcnt(1)
	v_mul_u32_u24_sdwa v4, v40, s36 dst_sel:DWORD dst_unused:UNUSED_PAD src0_sel:WORD_0 src1_sel:DWORD
	s_waitcnt lgkmcnt(0)
	v_pk_fma_f16 v5, v44, v4, v39
	v_pk_fma_f16 v4, v45, v4, v33
	v_mul_u32_u24_sdwa v33, v40, s36 dst_sel:DWORD dst_unused:UNUSED_PAD src0_sel:WORD_1 src1_sel:DWORD
	v_pk_fma_f16 v35, v44, v33, v35
	v_pk_fma_f16 v32, v45, v33, v32
	v_mul_u32_u24_sdwa v33, v41, s36 dst_sel:DWORD dst_unused:UNUSED_PAD src0_sel:WORD_0 src1_sel:DWORD
	v_pk_fma_f16 v5, v46, v33, v5
	v_pk_fma_f16 v4, v47, v33, v4
	v_mul_u32_u24_sdwa v33, v41, s36 dst_sel:DWORD dst_unused:UNUSED_PAD src0_sel:WORD_1 src1_sel:DWORD
	v_pk_fma_f16 v35, v46, v33, v35
	v_pk_fma_f16 v32, v47, v33, v32
	v_mul_u32_u24_sdwa v33, v42, s36 dst_sel:DWORD dst_unused:UNUSED_PAD src0_sel:WORD_0 src1_sel:DWORD
	v_mul_u32_u24_sdwa v44, v42, s36 dst_sel:DWORD dst_unused:UNUSED_PAD src0_sel:WORD_1 src1_sel:DWORD
	ds_read2_b64 v[39:42], v30 offset0:64 offset1:96
	v_mul_u32_u24_sdwa v45, v43, s36 dst_sel:DWORD dst_unused:UNUSED_PAD src0_sel:WORD_0 src1_sel:DWORD
	v_mul_u32_u24_sdwa v43, v43, s36 dst_sel:DWORD dst_unused:UNUSED_PAD src0_sel:WORD_1 src1_sel:DWORD
	s_waitcnt lgkmcnt(0)
	v_pk_fma_f16 v5, v39, v33, v5
	v_pk_fma_f16 v4, v40, v33, v4
	v_pk_fma_f16 v33, v39, v44, v35
	v_pk_fma_f16 v32, v40, v44, v32
	v_pk_fma_f16 v5, v41, v45, v5
	v_pk_fma_f16 v4, v42, v45, v4
	v_pk_fma_f16 v33, v41, v43, v33
	v_pk_fma_f16 v32, v42, v43, v32
	ds_read_b128 v[39:42], v23 offset:80
	ds_read2_b64 v[43:46], v30 offset0:128 offset1:160
	s_waitcnt lgkmcnt(1)
	v_mul_u32_u24_sdwa v35, v39, s36 dst_sel:DWORD dst_unused:UNUSED_PAD src0_sel:WORD_0 src1_sel:DWORD
	s_waitcnt lgkmcnt(0)
	v_pk_fma_f16 v5, v43, v35, v5
	v_pk_fma_f16 v4, v44, v35, v4
	v_mul_u32_u24_sdwa v35, v39, s36 dst_sel:DWORD dst_unused:UNUSED_PAD src0_sel:WORD_1 src1_sel:DWORD
	v_pk_fma_f16 v33, v43, v35, v33
	v_pk_fma_f16 v32, v44, v35, v32
	v_mul_u32_u24_sdwa v35, v40, s36 dst_sel:DWORD dst_unused:UNUSED_PAD src0_sel:WORD_0 src1_sel:DWORD
	v_pk_fma_f16 v5, v45, v35, v5
	v_pk_fma_f16 v4, v46, v35, v4
	v_mul_u32_u24_sdwa v35, v40, s36 dst_sel:DWORD dst_unused:UNUSED_PAD src0_sel:WORD_1 src1_sel:DWORD
	v_pk_fma_f16 v33, v45, v35, v33
	v_pk_fma_f16 v32, v46, v35, v32
	v_mul_u32_u24_sdwa v35, v41, s36 dst_sel:DWORD dst_unused:UNUSED_PAD src0_sel:WORD_0 src1_sel:DWORD
	v_mul_u32_u24_sdwa v43, v41, s36 dst_sel:DWORD dst_unused:UNUSED_PAD src0_sel:WORD_1 src1_sel:DWORD
	v_mul_u32_u24_sdwa v44, v42, s36 dst_sel:DWORD dst_unused:UNUSED_PAD src0_sel:WORD_0 src1_sel:DWORD
	v_mul_u32_u24_sdwa v45, v42, s36 dst_sel:DWORD dst_unused:UNUSED_PAD src0_sel:WORD_1 src1_sel:DWORD
	ds_read2_b64 v[39:42], v30 offset0:192 offset1:224
	s_waitcnt lgkmcnt(0)
	v_pk_fma_f16 v5, v39, v35, v5
	v_pk_fma_f16 v4, v40, v35, v4
	;; [unrolled: 1-line block ×8, first 2 shown]
	ds_read_b128 v[39:42], v23 offset:96
	ds_read2_b64 v[43:46], v31 offset1:32
	s_waitcnt lgkmcnt(1)
	v_mul_u32_u24_sdwa v35, v39, s36 dst_sel:DWORD dst_unused:UNUSED_PAD src0_sel:WORD_0 src1_sel:DWORD
	s_waitcnt lgkmcnt(0)
	v_pk_fma_f16 v5, v43, v35, v5
	v_pk_fma_f16 v4, v44, v35, v4
	v_mul_u32_u24_sdwa v35, v39, s36 dst_sel:DWORD dst_unused:UNUSED_PAD src0_sel:WORD_1 src1_sel:DWORD
	v_pk_fma_f16 v33, v43, v35, v33
	v_pk_fma_f16 v32, v44, v35, v32
	v_mul_u32_u24_sdwa v35, v40, s36 dst_sel:DWORD dst_unused:UNUSED_PAD src0_sel:WORD_0 src1_sel:DWORD
	v_pk_fma_f16 v5, v45, v35, v5
	v_pk_fma_f16 v4, v46, v35, v4
	v_mul_u32_u24_sdwa v35, v40, s36 dst_sel:DWORD dst_unused:UNUSED_PAD src0_sel:WORD_1 src1_sel:DWORD
	v_pk_fma_f16 v33, v45, v35, v33
	v_pk_fma_f16 v32, v46, v35, v32
	v_mul_u32_u24_sdwa v35, v41, s36 dst_sel:DWORD dst_unused:UNUSED_PAD src0_sel:WORD_0 src1_sel:DWORD
	v_mul_u32_u24_sdwa v43, v41, s36 dst_sel:DWORD dst_unused:UNUSED_PAD src0_sel:WORD_1 src1_sel:DWORD
	v_mul_u32_u24_sdwa v44, v42, s36 dst_sel:DWORD dst_unused:UNUSED_PAD src0_sel:WORD_0 src1_sel:DWORD
	v_mul_u32_u24_sdwa v45, v42, s36 dst_sel:DWORD dst_unused:UNUSED_PAD src0_sel:WORD_1 src1_sel:DWORD
	ds_read2_b64 v[39:42], v31 offset0:64 offset1:96
	s_waitcnt lgkmcnt(0)
	v_pk_fma_f16 v5, v39, v35, v5
	v_pk_fma_f16 v4, v40, v35, v4
	;; [unrolled: 1-line block ×8, first 2 shown]
	ds_read_b128 v[39:42], v23 offset:112
	ds_read2_b64 v[43:46], v31 offset0:128 offset1:160
	s_waitcnt lgkmcnt(1)
	v_mul_u32_u24_sdwa v35, v39, s36 dst_sel:DWORD dst_unused:UNUSED_PAD src0_sel:WORD_0 src1_sel:DWORD
	s_waitcnt lgkmcnt(0)
	v_pk_fma_f16 v5, v43, v35, v5
	v_pk_fma_f16 v4, v44, v35, v4
	v_mul_u32_u24_sdwa v35, v39, s36 dst_sel:DWORD dst_unused:UNUSED_PAD src0_sel:WORD_1 src1_sel:DWORD
	v_pk_fma_f16 v33, v43, v35, v33
	v_pk_fma_f16 v32, v44, v35, v32
	v_mul_u32_u24_sdwa v35, v40, s36 dst_sel:DWORD dst_unused:UNUSED_PAD src0_sel:WORD_0 src1_sel:DWORD
	v_pk_fma_f16 v5, v45, v35, v5
	v_pk_fma_f16 v4, v46, v35, v4
	v_mul_u32_u24_sdwa v35, v40, s36 dst_sel:DWORD dst_unused:UNUSED_PAD src0_sel:WORD_1 src1_sel:DWORD
	v_pk_fma_f16 v39, v45, v35, v33
	v_mov_b32_e32 v33, v18
	v_mov_b32_e32 v18, v37
	v_pk_fma_f16 v32, v46, v35, v32
	v_fmac_f32_e32 v18, v33, v34
	ds_read2_b64 v[33:36], v31 offset0:192 offset1:224
	s_waitcnt lgkmcnt(0)
	s_barrier
	s_load_dword s0, s[14:15], 0x4
	v_mul_u32_u24_sdwa v40, v41, s36 dst_sel:DWORD dst_unused:UNUSED_PAD src0_sel:WORD_0 src1_sel:DWORD
	v_mul_u32_u24_sdwa v41, v41, s36 dst_sel:DWORD dst_unused:UNUSED_PAD src0_sel:WORD_1 src1_sel:DWORD
	v_mul_u32_u24_sdwa v43, v42, s36 dst_sel:DWORD dst_unused:UNUSED_PAD src0_sel:WORD_0 src1_sel:DWORD
	v_mul_u32_u24_sdwa v42, v42, s36 dst_sel:DWORD dst_unused:UNUSED_PAD src0_sel:WORD_1 src1_sel:DWORD
	s_waitcnt lgkmcnt(0)
	s_lshl_b32 s0, s0, 5
	v_pk_fma_f16 v5, v33, v40, v5
	v_pk_fma_f16 v4, v34, v40, v4
	;; [unrolled: 1-line block ×4, first 2 shown]
	s_add_i32 s6, s0, s6
	s_cmp_ge_i32 s6, s28
	v_pk_fma_f16 v34, v35, v43, v5
	v_pk_fma_f16 v33, v35, v42, v33
	;; [unrolled: 1-line block ×4, first 2 shown]
	s_cbranch_scc0 .LBB5_13
.LBB5_14:
	v_cmp_lt_i32_e32 vcc, v17, v11
	v_cndmask_b32_e32 v3, v9, v17, vcc
	v_lshlrev_b32_e32 v3, 2, v3
	ds_bpermute_b32 v4, v3, v16
	ds_bpermute_b32 v3, v3, v18
	v_cmp_lt_i32_e32 vcc, v15, v11
	v_cndmask_b32_e32 v5, v9, v15, vcc
	v_lshlrev_b32_e32 v5, 2, v5
	s_waitcnt lgkmcnt(1)
	v_add_f32_e32 v4, v16, v4
	s_waitcnt lgkmcnt(0)
	v_add_f32_e32 v3, v18, v3
	ds_bpermute_b32 v7, v5, v4
	ds_bpermute_b32 v5, v5, v3
	v_cmp_lt_i32_e32 vcc, v14, v11
	v_cndmask_b32_e32 v14, v9, v14, vcc
	v_lshlrev_b32_e32 v14, 2, v14
	s_waitcnt lgkmcnt(1)
	v_add_f32_e32 v4, v4, v7
	s_waitcnt lgkmcnt(0)
	v_add_f32_e32 v3, v3, v5
	;; [unrolled: 9-line block ×4, first 2 shown]
	ds_bpermute_b32 v7, v9, v4
	ds_bpermute_b32 v9, v9, v5
	s_cmp_lg_u64 s[16:17], 0
	s_cselect_b64 s[2:3], -1, 0
	s_cmp_eq_u32 s7, 0
	s_cselect_b64 s[8:9], -1, 0
	s_and_b64 s[2:3], s[8:9], s[2:3]
	s_waitcnt lgkmcnt(1)
	v_add_f32_e32 v3, v4, v7
	s_waitcnt lgkmcnt(0)
	v_add_f32_e32 v4, v5, v9
	s_mov_b64 s[0:1], 0
	s_and_b64 vcc, exec, s[2:3]
	v_add_u32_e32 v5, s29, v6
	s_cbranch_vccnz .LBB5_17
; %bb.15:
	v_add_u32_e32 v9, s29, v6
	v_mov_b32_e32 v7, v4
	v_mov_b32_e32 v6, v3
	s_andn2_b64 vcc, exec, s[0:1]
	s_cbranch_vccz .LBB5_18
; %bb.16:
	v_mov_b32_e32 v5, v9
	s_branch .LBB5_19
.LBB5_17:
                                        ; implicit-def: $vgpr9
                                        ; implicit-def: $vgpr6_vgpr7
.LBB5_18:
	v_ashrrev_i32_e32 v6, 31, v5
	v_lshlrev_b64 v[6:7], 2, v[5:6]
	v_mov_b32_e32 v9, s17
	v_add_co_u32_e32 v6, vcc, s16, v6
	v_addc_co_u32_e32 v7, vcc, v9, v7, vcc
	global_load_dwordx2 v[6:7], v[6:7], off
	v_max_f32_e32 v9, v1, v1
	v_max_f32_e32 v12, v2, v2
	s_mov_b32 s0, 0x3fb8aa3b
	s_mov_b32 s1, 0xc2ce8ed0
	;; [unrolled: 1-line block ×3, first 2 shown]
	v_mov_b32_e32 v13, 0x7f800000
	s_waitcnt vmcnt(0)
	v_max_f32_e32 v11, v6, v6
	v_max_f32_e32 v14, v7, v7
	;; [unrolled: 1-line block ×4, first 2 shown]
	v_sub_f32_e32 v9, v1, v11
	v_sub_f32_e32 v14, v2, v12
	v_mov_b32_e32 v1, v11
	v_sub_f32_e32 v6, v6, v11
	v_mov_b32_e32 v2, v12
	v_mul_f32_e32 v11, 0x3fb8aa3b, v9
	v_sub_f32_e32 v7, v7, v12
	v_mul_f32_e32 v12, 0x3fb8aa3b, v6
	v_fma_f32 v17, v9, s0, -v11
	v_rndne_f32_e32 v18, v11
	v_mul_f32_e32 v15, 0x3fb8aa3b, v14
	v_fma_f32 v19, v6, s0, -v12
	v_rndne_f32_e32 v20, v12
	v_fmac_f32_e32 v17, 0x32a5705f, v9
	v_sub_f32_e32 v11, v11, v18
	v_mul_f32_e32 v16, 0x3fb8aa3b, v7
	v_fma_f32 v21, v14, s0, -v15
	v_rndne_f32_e32 v22, v15
	v_fmac_f32_e32 v19, 0x32a5705f, v6
	v_sub_f32_e32 v12, v12, v20
	v_add_f32_e32 v11, v11, v17
	v_fma_f32 v23, v7, s0, -v16
	v_rndne_f32_e32 v24, v16
	v_cvt_i32_f32_e32 v18, v18
	v_fmac_f32_e32 v21, 0x32a5705f, v14
	v_sub_f32_e32 v15, v15, v22
	v_add_f32_e32 v12, v12, v19
	v_exp_f32_e32 v11, v11
	v_cvt_i32_f32_e32 v20, v20
	v_fmac_f32_e32 v23, 0x32a5705f, v7
	v_sub_f32_e32 v16, v16, v24
	v_add_f32_e32 v15, v15, v21
	v_exp_f32_e32 v12, v12
	v_cvt_i32_f32_e32 v22, v22
	v_add_f32_e32 v16, v16, v23
	v_exp_f32_e32 v15, v15
	v_cvt_i32_f32_e32 v24, v24
	v_exp_f32_e32 v16, v16
	v_ldexp_f32 v11, v11, v18
	v_cmp_ngt_f32_e32 vcc, s1, v9
	v_ldexp_f32 v12, v12, v20
	v_cndmask_b32_e32 v11, 0, v11, vcc
	v_cmp_ngt_f32_e32 vcc, s1, v6
	v_ldexp_f32 v15, v15, v22
	v_cndmask_b32_e32 v12, 0, v12, vcc
	;; [unrolled: 3-line block ×3, first 2 shown]
	v_cmp_ngt_f32_e32 vcc, s1, v7
	v_cndmask_b32_e32 v16, 0, v16, vcc
	v_cmp_nlt_f32_e32 vcc, s2, v9
	v_cndmask_b32_e32 v9, v13, v11, vcc
	v_cmp_nlt_f32_e32 vcc, s2, v6
	;; [unrolled: 2-line block ×3, first 2 shown]
	v_cndmask_b32_e32 v11, v13, v15, vcc
	v_fmac_f32_e32 v6, v3, v9
	v_cvt_f16_f32_e32 v9, v9
	v_cvt_f16_f32_e32 v12, v11
	v_cmp_nlt_f32_e32 vcc, s2, v7
	v_cndmask_b32_e32 v7, v13, v16, vcc
	v_fmac_f32_e32 v7, v4, v11
	v_mul_u32_u24_e32 v4, 0x10001, v9
	v_mul_u32_u24_e32 v9, 0x10001, v12
	v_mov_b32_e32 v3, v6
	v_pk_mul_f16 v34, v34, v4
	v_pk_mul_f16 v35, v35, v4
	;; [unrolled: 1-line block ×4, first 2 shown]
	v_mov_b32_e32 v4, v7
.LBB5_19:
	s_load_dword s6, s[4:5], 0xd4
	v_mov_b32_e32 v9, 1.0
	s_waitcnt lgkmcnt(0)
	s_cmp_lg_u32 s6, 1
	s_cselect_b64 s[0:1], -1, 0
	s_cmp_eq_u32 s6, 1
	s_cselect_b64 s[2:3], -1, 0
	s_and_b64 vcc, exec, s[0:1]
	s_cbranch_vccnz .LBB5_21
; %bb.20:
	v_div_scale_f32 v9, s[4:5], v3, v3, 1.0
	v_div_scale_f32 v11, vcc, 1.0, v3, 1.0
	v_rcp_f32_e32 v12, v9
	v_fma_f32 v13, -v9, v12, 1.0
	v_fmac_f32_e32 v12, v13, v12
	v_mul_f32_e32 v13, v11, v12
	v_fma_f32 v14, -v9, v13, v11
	v_fmac_f32_e32 v13, v14, v12
	v_fma_f32 v9, -v9, v13, v11
	v_div_fmas_f32 v9, v9, v12, v13
	v_div_fixup_f32 v9, v9, v3, 1.0
.LBB5_21:
	s_mul_i32 s33, s33, s26
	v_add_u32_e32 v3, s33, v8
	v_mad_u64_u32 v[11:12], s[4:5], v3, s27, v[5:6]
	v_cmp_eq_u32_e32 vcc, 0, v0
	v_mov_b32_e32 v16, 0
	v_mul_lo_u32 v0, s6, v11
	v_cvt_f32_f16_e32 v3, v34
	v_cvt_f32_f16_sdwa v5, v34 dst_sel:DWORD dst_unused:UNUSED_PAD src0_sel:WORD_1
	v_cvt_f32_f16_sdwa v14, v35 dst_sel:DWORD dst_unused:UNUSED_PAD src0_sel:WORD_1
	v_add_u32_e32 v8, s7, v0
	v_cvt_f32_f16_e32 v0, v35
	v_lshl_add_u32 v15, v8, 7, v10
	v_lshlrev_b64 v[15:16], 2, v[15:16]
	s_and_b64 s[0:1], vcc, s[0:1]
	v_mul_f32_e32 v13, v9, v0
	v_mov_b32_e32 v0, s21
	v_add_co_u32_e32 v15, vcc, s20, v15
	v_mul_f32_e32 v11, v9, v3
	v_mul_f32_e32 v12, v9, v5
	;; [unrolled: 1-line block ×3, first 2 shown]
	v_addc_co_u32_e32 v16, vcc, v0, v16, vcc
	global_store_dwordx4 v[15:16], v[11:14], off
	s_and_saveexec_b64 s[4:5], s[0:1]
	s_cbranch_execz .LBB5_23
; %bb.22:
	v_ashrrev_i32_e32 v9, 31, v8
	v_lshlrev_b64 v[11:12], 3, v[8:9]
	v_mov_b32_e32 v0, s23
	v_add_co_u32_e32 v11, vcc, s22, v11
	v_addc_co_u32_e32 v12, vcc, v0, v12, vcc
	v_mov_b32_e32 v0, v1
	v_mov_b32_e32 v1, v6
	global_store_dwordx2 v[11:12], v[0:1], off
.LBB5_23:
	s_or_b64 exec, exec, s[4:5]
	s_andn2_b64 vcc, exec, s[2:3]
	v_mov_b32_e32 v1, 1.0
	s_cbranch_vccnz .LBB5_25
; %bb.24:
	v_div_scale_f32 v0, s[2:3], v4, v4, 1.0
	v_div_scale_f32 v1, vcc, 1.0, v4, 1.0
	v_rcp_f32_e32 v3, v0
	v_fma_f32 v5, -v0, v3, 1.0
	v_fmac_f32_e32 v3, v5, v3
	v_mul_f32_e32 v5, v1, v3
	v_fma_f32 v6, -v0, v5, v1
	v_fmac_f32_e32 v5, v6, v3
	v_fma_f32 v0, -v0, v5, v1
	v_div_fmas_f32 v0, v0, v3, v5
	v_div_fixup_f32 v1, v0, v4, 1.0
.LBB5_25:
	v_add_u32_e32 v0, s6, v8
	v_cvt_f32_f16_e32 v3, v33
	v_cvt_f32_f16_sdwa v4, v33 dst_sel:DWORD dst_unused:UNUSED_PAD src0_sel:WORD_1
	v_cvt_f32_f16_e32 v5, v32
	v_cvt_f32_f16_sdwa v6, v32 dst_sel:DWORD dst_unused:UNUSED_PAD src0_sel:WORD_1
	v_lshl_add_u32 v8, v0, 7, v10
	v_mov_b32_e32 v9, 0
	v_lshlrev_b64 v[8:9], 2, v[8:9]
	v_mul_f32_e32 v3, v1, v3
	v_mul_f32_e32 v4, v1, v4
	;; [unrolled: 1-line block ×4, first 2 shown]
	v_mov_b32_e32 v1, s21
	v_add_co_u32_e32 v8, vcc, s20, v8
	v_addc_co_u32_e32 v9, vcc, v1, v9, vcc
	global_store_dwordx4 v[8:9], v[3:6], off
	s_and_saveexec_b64 s[2:3], s[0:1]
	s_cbranch_execz .LBB5_27
; %bb.26:
	v_ashrrev_i32_e32 v1, 31, v0
	v_lshlrev_b64 v[0:1], 3, v[0:1]
	v_mov_b32_e32 v3, s23
	v_add_co_u32_e32 v0, vcc, s22, v0
	v_addc_co_u32_e32 v1, vcc, v3, v1, vcc
	v_mov_b32_e32 v6, v2
	global_store_dwordx2 v[0:1], v[6:7], off
.LBB5_27:
	s_endpgm
	.section	.rodata,"a",@progbits
	.p2align	6, 0x0
	.amdhsa_kernel _ZL15flash_attn_tileILi192ELi128ELi1ELi16ELb0EEvPKcS1_S1_S1_S1_PKiPfP15HIP_vector_typeIfLj2EEffffjfiS5_IjLj3EEiiiiiiiiiiiliiliiiiil
		.amdhsa_group_segment_fixed_size 11776
		.amdhsa_private_segment_fixed_size 0
		.amdhsa_kernarg_size 464
		.amdhsa_user_sgpr_count 6
		.amdhsa_user_sgpr_private_segment_buffer 1
		.amdhsa_user_sgpr_dispatch_ptr 0
		.amdhsa_user_sgpr_queue_ptr 0
		.amdhsa_user_sgpr_kernarg_segment_ptr 1
		.amdhsa_user_sgpr_dispatch_id 0
		.amdhsa_user_sgpr_flat_scratch_init 0
		.amdhsa_user_sgpr_private_segment_size 0
		.amdhsa_uses_dynamic_stack 0
		.amdhsa_system_sgpr_private_segment_wavefront_offset 0
		.amdhsa_system_sgpr_workgroup_id_x 1
		.amdhsa_system_sgpr_workgroup_id_y 1
		.amdhsa_system_sgpr_workgroup_id_z 1
		.amdhsa_system_sgpr_workgroup_info 0
		.amdhsa_system_vgpr_workitem_id 1
		.amdhsa_next_free_vgpr 50
		.amdhsa_next_free_sgpr 98
		.amdhsa_reserve_vcc 1
		.amdhsa_reserve_flat_scratch 0
		.amdhsa_float_round_mode_32 0
		.amdhsa_float_round_mode_16_64 0
		.amdhsa_float_denorm_mode_32 3
		.amdhsa_float_denorm_mode_16_64 3
		.amdhsa_dx10_clamp 1
		.amdhsa_ieee_mode 1
		.amdhsa_fp16_overflow 0
		.amdhsa_exception_fp_ieee_invalid_op 0
		.amdhsa_exception_fp_denorm_src 0
		.amdhsa_exception_fp_ieee_div_zero 0
		.amdhsa_exception_fp_ieee_overflow 0
		.amdhsa_exception_fp_ieee_underflow 0
		.amdhsa_exception_fp_ieee_inexact 0
		.amdhsa_exception_int_div_zero 0
	.end_amdhsa_kernel
	.section	.text._ZL15flash_attn_tileILi192ELi128ELi1ELi16ELb0EEvPKcS1_S1_S1_S1_PKiPfP15HIP_vector_typeIfLj2EEffffjfiS5_IjLj3EEiiiiiiiiiiiliiliiiiil,"axG",@progbits,_ZL15flash_attn_tileILi192ELi128ELi1ELi16ELb0EEvPKcS1_S1_S1_S1_PKiPfP15HIP_vector_typeIfLj2EEffffjfiS5_IjLj3EEiiiiiiiiiiiliiliiiiil,comdat
.Lfunc_end5:
	.size	_ZL15flash_attn_tileILi192ELi128ELi1ELi16ELb0EEvPKcS1_S1_S1_S1_PKiPfP15HIP_vector_typeIfLj2EEffffjfiS5_IjLj3EEiiiiiiiiiiiliiliiiiil, .Lfunc_end5-_ZL15flash_attn_tileILi192ELi128ELi1ELi16ELb0EEvPKcS1_S1_S1_S1_PKiPfP15HIP_vector_typeIfLj2EEffffjfiS5_IjLj3EEiiiiiiiiiiiliiliiiiil
                                        ; -- End function
	.set _ZL15flash_attn_tileILi192ELi128ELi1ELi16ELb0EEvPKcS1_S1_S1_S1_PKiPfP15HIP_vector_typeIfLj2EEffffjfiS5_IjLj3EEiiiiiiiiiiiliiliiiiil.num_vgpr, 50
	.set _ZL15flash_attn_tileILi192ELi128ELi1ELi16ELb0EEvPKcS1_S1_S1_S1_PKiPfP15HIP_vector_typeIfLj2EEffffjfiS5_IjLj3EEiiiiiiiiiiiliiliiiiil.num_agpr, 0
	.set _ZL15flash_attn_tileILi192ELi128ELi1ELi16ELb0EEvPKcS1_S1_S1_S1_PKiPfP15HIP_vector_typeIfLj2EEffffjfiS5_IjLj3EEiiiiiiiiiiiliiliiiiil.numbered_sgpr, 44
	.set _ZL15flash_attn_tileILi192ELi128ELi1ELi16ELb0EEvPKcS1_S1_S1_S1_PKiPfP15HIP_vector_typeIfLj2EEffffjfiS5_IjLj3EEiiiiiiiiiiiliiliiiiil.num_named_barrier, 0
	.set _ZL15flash_attn_tileILi192ELi128ELi1ELi16ELb0EEvPKcS1_S1_S1_S1_PKiPfP15HIP_vector_typeIfLj2EEffffjfiS5_IjLj3EEiiiiiiiiiiiliiliiiiil.private_seg_size, 0
	.set _ZL15flash_attn_tileILi192ELi128ELi1ELi16ELb0EEvPKcS1_S1_S1_S1_PKiPfP15HIP_vector_typeIfLj2EEffffjfiS5_IjLj3EEiiiiiiiiiiiliiliiiiil.uses_vcc, 1
	.set _ZL15flash_attn_tileILi192ELi128ELi1ELi16ELb0EEvPKcS1_S1_S1_S1_PKiPfP15HIP_vector_typeIfLj2EEffffjfiS5_IjLj3EEiiiiiiiiiiiliiliiiiil.uses_flat_scratch, 0
	.set _ZL15flash_attn_tileILi192ELi128ELi1ELi16ELb0EEvPKcS1_S1_S1_S1_PKiPfP15HIP_vector_typeIfLj2EEffffjfiS5_IjLj3EEiiiiiiiiiiiliiliiiiil.has_dyn_sized_stack, 0
	.set _ZL15flash_attn_tileILi192ELi128ELi1ELi16ELb0EEvPKcS1_S1_S1_S1_PKiPfP15HIP_vector_typeIfLj2EEffffjfiS5_IjLj3EEiiiiiiiiiiiliiliiiiil.has_recursion, 0
	.set _ZL15flash_attn_tileILi192ELi128ELi1ELi16ELb0EEvPKcS1_S1_S1_S1_PKiPfP15HIP_vector_typeIfLj2EEffffjfiS5_IjLj3EEiiiiiiiiiiiliiliiiiil.has_indirect_call, 0
	.section	.AMDGPU.csdata,"",@progbits
; Kernel info:
; codeLenInByte = 8400
; TotalNumSgprs: 48
; NumVgprs: 50
; ScratchSize: 0
; MemoryBound: 0
; FloatMode: 240
; IeeeMode: 1
; LDSByteSize: 11776 bytes/workgroup (compile time only)
; SGPRBlocks: 12
; VGPRBlocks: 12
; NumSGPRsForWavesPerEU: 102
; NumVGPRsForWavesPerEU: 50
; Occupancy: 4
; WaveLimiterHint : 1
; COMPUTE_PGM_RSRC2:SCRATCH_EN: 0
; COMPUTE_PGM_RSRC2:USER_SGPR: 6
; COMPUTE_PGM_RSRC2:TRAP_HANDLER: 0
; COMPUTE_PGM_RSRC2:TGID_X_EN: 1
; COMPUTE_PGM_RSRC2:TGID_Y_EN: 1
; COMPUTE_PGM_RSRC2:TGID_Z_EN: 1
; COMPUTE_PGM_RSRC2:TIDIG_COMP_CNT: 1
	.section	.text._ZL25flash_attn_mask_to_KV_maxILi1EEvPK7__half2Piiii,"axG",@progbits,_ZL25flash_attn_mask_to_KV_maxILi1EEvPK7__half2Piiii,comdat
	.globl	_ZL25flash_attn_mask_to_KV_maxILi1EEvPK7__half2Piiii ; -- Begin function _ZL25flash_attn_mask_to_KV_maxILi1EEvPK7__half2Piiii
	.p2align	8
	.type	_ZL25flash_attn_mask_to_KV_maxILi1EEvPK7__half2Piiii,@function
_ZL25flash_attn_mask_to_KV_maxILi1EEvPK7__half2Piiii: ; @_ZL25flash_attn_mask_to_KV_maxILi1EEvPK7__half2Piiii
; %bb.0:
	s_load_dwordx4 s[8:11], s[4:5], 0x0
	v_cmp_gt_u32_e32 vcc, 32, v0
	s_and_saveexec_b64 s[0:1], vcc
; %bb.1:
	v_lshlrev_b32_e32 v1, 2, v0
	v_mov_b32_e32 v2, 1
	ds_write_b32 v1, v2
; %bb.2:
	s_or_b64 exec, exec, s[0:1]
	s_load_dwordx4 s[0:3], s[4:5], 0x10
	s_load_dword s12, s[4:5], 0x20
	v_and_b32_e32 v1, 31, v0
	v_lshlrev_b32_e32 v4, 2, v1
	v_lshrrev_b32_e32 v3, 3, v0
	s_waitcnt lgkmcnt(0)
	s_mul_i32 s2, s2, s7
	s_mul_i32 s1, s1, s6
	s_add_i32 s2, s2, s1
	s_ashr_i32 s3, s2, 31
	s_lshl_b64 s[2:3], s[2:3], 2
	s_add_u32 s13, s8, s2
	s_addc_u32 s14, s9, s3
	s_lshl_b32 s15, s0, 8
	v_cmp_eq_u32_e64 s[0:1], 0, v1
	v_mbcnt_lo_u32_b32 v1, -1, 0
	v_mbcnt_hi_u32_b32 v5, -1, v1
	v_and_b32_e32 v1, 0x60, v5
	s_mov_b64 s[4:5], 0
	v_mov_b32_e32 v2, 0
	s_movk_i32 s16, 0x204
	v_add_u32_e32 v6, 32, v1
	v_xor_b32_e32 v7, 16, v5
	v_xor_b32_e32 v8, 8, v5
	;; [unrolled: 1-line block ×5, first 2 shown]
	s_barrier
                                        ; implicit-def: $sgpr2_sgpr3
	s_branch .LBB6_5
.LBB6_3:                                ;   in Loop: Header=BB6_5 Depth=1
	s_or_b64 exec, exec, s[8:9]
	s_waitcnt lgkmcnt(0)
	s_barrier
	ds_read_b32 v16, v4
	s_waitcnt lgkmcnt(0)
	s_barrier
	ds_bpermute_b32 v1, v1, v16
	v_cmp_ne_u32_e32 vcc, 0, v16
	s_waitcnt lgkmcnt(0)
	v_cmp_ne_u32_e64 s[2:3], 0, v1
	s_and_b64 s[2:3], vcc, s[2:3]
	v_cndmask_b32_e64 v1, 0, 1, s[2:3]
	ds_bpermute_b32 v1, v12, v1
	s_waitcnt lgkmcnt(0)
	v_cmp_ne_u32_e32 vcc, 0, v1
	s_and_b64 s[2:3], vcc, s[2:3]
	v_cndmask_b32_e64 v1, 0, 1, s[2:3]
	ds_bpermute_b32 v1, v13, v1
	s_waitcnt lgkmcnt(0)
	v_cmp_ne_u32_e32 vcc, 0, v1
	;; [unrolled: 5-line block ×3, first 2 shown]
	s_and_b64 s[2:3], vcc, s[2:3]
	v_cndmask_b32_e64 v1, 0, 1, s[2:3]
	ds_bpermute_b32 v1, v15, v1
	s_xor_b64 s[2:3], s[2:3], -1
	s_waitcnt lgkmcnt(0)
	v_cmp_eq_u32_e32 vcc, 0, v1
	s_or_b64 s[2:3], vcc, s[2:3]
.LBB6_4:                                ;   in Loop: Header=BB6_5 Depth=1
	s_and_b64 s[8:9], exec, s[2:3]
	s_or_b64 s[4:5], s[8:9], s[4:5]
	v_mov_b32_e32 v1, s15
	s_mov_b32 s15, s17
	s_andn2_b64 exec, exec, s[4:5]
	s_cbranch_execz .LBB6_10
.LBB6_5:                                ; =>This Inner Loop Header: Depth=1
	s_add_i32 s17, s15, 0xffffff00
	s_or_b64 s[2:3], s[2:3], exec
	s_cmp_lt_i32 s17, 0
	s_cbranch_scc1 .LBB6_4
; %bb.6:                                ;   in Loop: Header=BB6_5 Depth=1
	s_lshr_b32 s2, s17, 1
	v_add_u32_e32 v1, s2, v0
	v_lshlrev_b64 v[12:13], 2, v[1:2]
	v_mov_b32_e32 v1, s14
	v_add_co_u32_e32 v12, vcc, s13, v12
	v_addc_co_u32_e32 v13, vcc, v1, v13, vcc
	global_load_dword v1, v[12:13], off
	v_mov_b32_e32 v12, 0
	s_waitcnt vmcnt(0)
	v_cmp_class_f16_e64 s[8:9], v1, s16
	s_and_saveexec_b64 s[2:3], s[8:9]
; %bb.7:                                ;   in Loop: Header=BB6_5 Depth=1
	v_cmp_class_f16_sdwa s[8:9], v1, s16 src0_sel:WORD_1 src1_sel:DWORD
	v_cndmask_b32_e64 v12, 0, 1, s[8:9]
; %bb.8:                                ;   in Loop: Header=BB6_5 Depth=1
	s_or_b64 exec, exec, s[2:3]
	v_cmp_lt_i32_e32 vcc, v7, v6
	v_cndmask_b32_e32 v1, v5, v7, vcc
	v_lshlrev_b32_e32 v1, 2, v1
	ds_bpermute_b32 v13, v1, v12
	v_cmp_ne_u32_e32 vcc, 0, v12
	s_waitcnt lgkmcnt(0)
	v_cmp_ne_u32_e64 s[2:3], 0, v13
	s_and_b64 s[2:3], vcc, s[2:3]
	v_cmp_lt_i32_e32 vcc, v8, v6
	v_cndmask_b32_e32 v12, v5, v8, vcc
	v_cndmask_b32_e64 v13, 0, 1, s[2:3]
	v_lshlrev_b32_e32 v12, 2, v12
	ds_bpermute_b32 v13, v12, v13
	s_waitcnt lgkmcnt(0)
	v_cmp_ne_u32_e32 vcc, 0, v13
	s_and_b64 s[2:3], vcc, s[2:3]
	v_cmp_lt_i32_e32 vcc, v9, v6
	v_cndmask_b32_e32 v13, v5, v9, vcc
	v_cndmask_b32_e64 v14, 0, 1, s[2:3]
	v_lshlrev_b32_e32 v13, 2, v13
	ds_bpermute_b32 v14, v13, v14
	s_waitcnt lgkmcnt(0)
	v_cmp_ne_u32_e32 vcc, 0, v14
	;; [unrolled: 8-line block ×3, first 2 shown]
	s_and_b64 s[2:3], vcc, s[2:3]
	v_cmp_lt_i32_e32 vcc, v11, v6
	v_cndmask_b32_e32 v15, v5, v11, vcc
	v_cndmask_b32_e64 v16, 0, 1, s[2:3]
	v_lshlrev_b32_e32 v15, 2, v15
	ds_bpermute_b32 v16, v15, v16
	s_and_saveexec_b64 s[8:9], s[0:1]
	s_cbranch_execz .LBB6_3
; %bb.9:                                ;   in Loop: Header=BB6_5 Depth=1
	s_waitcnt lgkmcnt(0)
	v_cmp_ne_u32_e32 vcc, 0, v16
	s_and_b64 s[2:3], vcc, s[2:3]
	v_cndmask_b32_e64 v16, 0, 1, s[2:3]
	ds_write_b32 v3, v16
	s_branch .LBB6_3
.LBB6_10:
	s_or_b64 exec, exec, s[4:5]
	v_cmp_eq_u32_e32 vcc, 0, v0
	s_and_saveexec_b64 s[0:1], vcc
	s_cbranch_execz .LBB6_12
; %bb.11:
	s_mul_i32 s0, s12, s7
	s_add_i32 s0, s0, s6
	s_ashr_i32 s1, s0, 31
	s_lshl_b64 s[0:1], s[0:1], 2
	s_add_u32 s0, s10, s0
	s_addc_u32 s1, s11, s1
	v_mov_b32_e32 v0, 0
	global_store_dword v0, v1, s[0:1]
.LBB6_12:
	s_endpgm
	.section	.rodata,"a",@progbits
	.p2align	6, 0x0
	.amdhsa_kernel _ZL25flash_attn_mask_to_KV_maxILi1EEvPK7__half2Piiii
		.amdhsa_group_segment_fixed_size 128
		.amdhsa_private_segment_fixed_size 0
		.amdhsa_kernarg_size 288
		.amdhsa_user_sgpr_count 6
		.amdhsa_user_sgpr_private_segment_buffer 1
		.amdhsa_user_sgpr_dispatch_ptr 0
		.amdhsa_user_sgpr_queue_ptr 0
		.amdhsa_user_sgpr_kernarg_segment_ptr 1
		.amdhsa_user_sgpr_dispatch_id 0
		.amdhsa_user_sgpr_flat_scratch_init 0
		.amdhsa_user_sgpr_private_segment_size 0
		.amdhsa_uses_dynamic_stack 0
		.amdhsa_system_sgpr_private_segment_wavefront_offset 0
		.amdhsa_system_sgpr_workgroup_id_x 1
		.amdhsa_system_sgpr_workgroup_id_y 1
		.amdhsa_system_sgpr_workgroup_id_z 0
		.amdhsa_system_sgpr_workgroup_info 0
		.amdhsa_system_vgpr_workitem_id 0
		.amdhsa_next_free_vgpr 17
		.amdhsa_next_free_sgpr 18
		.amdhsa_reserve_vcc 1
		.amdhsa_reserve_flat_scratch 0
		.amdhsa_float_round_mode_32 0
		.amdhsa_float_round_mode_16_64 0
		.amdhsa_float_denorm_mode_32 3
		.amdhsa_float_denorm_mode_16_64 3
		.amdhsa_dx10_clamp 1
		.amdhsa_ieee_mode 1
		.amdhsa_fp16_overflow 0
		.amdhsa_exception_fp_ieee_invalid_op 0
		.amdhsa_exception_fp_denorm_src 0
		.amdhsa_exception_fp_ieee_div_zero 0
		.amdhsa_exception_fp_ieee_overflow 0
		.amdhsa_exception_fp_ieee_underflow 0
		.amdhsa_exception_fp_ieee_inexact 0
		.amdhsa_exception_int_div_zero 0
	.end_amdhsa_kernel
	.section	.text._ZL25flash_attn_mask_to_KV_maxILi1EEvPK7__half2Piiii,"axG",@progbits,_ZL25flash_attn_mask_to_KV_maxILi1EEvPK7__half2Piiii,comdat
.Lfunc_end6:
	.size	_ZL25flash_attn_mask_to_KV_maxILi1EEvPK7__half2Piiii, .Lfunc_end6-_ZL25flash_attn_mask_to_KV_maxILi1EEvPK7__half2Piiii
                                        ; -- End function
	.set _ZL25flash_attn_mask_to_KV_maxILi1EEvPK7__half2Piiii.num_vgpr, 17
	.set _ZL25flash_attn_mask_to_KV_maxILi1EEvPK7__half2Piiii.num_agpr, 0
	.set _ZL25flash_attn_mask_to_KV_maxILi1EEvPK7__half2Piiii.numbered_sgpr, 18
	.set _ZL25flash_attn_mask_to_KV_maxILi1EEvPK7__half2Piiii.num_named_barrier, 0
	.set _ZL25flash_attn_mask_to_KV_maxILi1EEvPK7__half2Piiii.private_seg_size, 0
	.set _ZL25flash_attn_mask_to_KV_maxILi1EEvPK7__half2Piiii.uses_vcc, 1
	.set _ZL25flash_attn_mask_to_KV_maxILi1EEvPK7__half2Piiii.uses_flat_scratch, 0
	.set _ZL25flash_attn_mask_to_KV_maxILi1EEvPK7__half2Piiii.has_dyn_sized_stack, 0
	.set _ZL25flash_attn_mask_to_KV_maxILi1EEvPK7__half2Piiii.has_recursion, 0
	.set _ZL25flash_attn_mask_to_KV_maxILi1EEvPK7__half2Piiii.has_indirect_call, 0
	.section	.AMDGPU.csdata,"",@progbits
; Kernel info:
; codeLenInByte = 752
; TotalNumSgprs: 22
; NumVgprs: 17
; ScratchSize: 0
; MemoryBound: 0
; FloatMode: 240
; IeeeMode: 1
; LDSByteSize: 128 bytes/workgroup (compile time only)
; SGPRBlocks: 2
; VGPRBlocks: 4
; NumSGPRsForWavesPerEU: 22
; NumVGPRsForWavesPerEU: 17
; Occupancy: 10
; WaveLimiterHint : 0
; COMPUTE_PGM_RSRC2:SCRATCH_EN: 0
; COMPUTE_PGM_RSRC2:USER_SGPR: 6
; COMPUTE_PGM_RSRC2:TRAP_HANDLER: 0
; COMPUTE_PGM_RSRC2:TGID_X_EN: 1
; COMPUTE_PGM_RSRC2:TGID_Y_EN: 1
; COMPUTE_PGM_RSRC2:TGID_Z_EN: 0
; COMPUTE_PGM_RSRC2:TIDIG_COMP_CNT: 0
	.section	.text._ZL33flash_attn_stream_k_fixup_uniformILi128ELi1ELi16EEvPfPK15HIP_vector_typeIfLj2EEiiiiiiS1_IjLj3EES5_S5_,"axG",@progbits,_ZL33flash_attn_stream_k_fixup_uniformILi128ELi1ELi16EEvPfPK15HIP_vector_typeIfLj2EEiiiiiiS1_IjLj3EES5_S5_,comdat
	.globl	_ZL33flash_attn_stream_k_fixup_uniformILi128ELi1ELi16EEvPfPK15HIP_vector_typeIfLj2EEiiiiiiS1_IjLj3EES5_S5_ ; -- Begin function _ZL33flash_attn_stream_k_fixup_uniformILi128ELi1ELi16EEvPfPK15HIP_vector_typeIfLj2EEiiiiiiS1_IjLj3EES5_S5_
	.p2align	8
	.type	_ZL33flash_attn_stream_k_fixup_uniformILi128ELi1ELi16EEvPfPK15HIP_vector_typeIfLj2EEiiiiiiS1_IjLj3EES5_S5_,@function
_ZL33flash_attn_stream_k_fixup_uniformILi128ELi1ELi16EEvPfPK15HIP_vector_typeIfLj2EEiiiiiiS1_IjLj3EES5_S5_: ; @_ZL33flash_attn_stream_k_fixup_uniformILi128ELi1ELi16EEvPfPK15HIP_vector_typeIfLj2EEiiiiiiS1_IjLj3EES5_S5_
; %bb.0:
	s_load_dwordx8 s[12:19], s[4:5], 0x1c
	s_load_dwordx2 s[10:11], s[4:5], 0x10
	s_load_dwordx4 s[0:3], s[4:5], 0x3c
	s_waitcnt lgkmcnt(0)
	s_mul_hi_u32 s9, s15, s6
	s_add_i32 s9, s6, s9
	s_lshr_b32 s9, s9, s16
	s_mul_i32 s15, s9, s17
	s_sub_i32 s16, s6, s15
	s_mul_hi_u32 s15, s16, s18
	s_add_i32 s15, s16, s15
	s_lshr_b32 s15, s15, s19
	s_mul_i32 s0, s15, s0
	s_sub_i32 s0, s16, s0
	;; [unrolled: 5-line block ×3, first 2 shown]
	s_lshl_b32 s17, s1, 4
	s_add_i32 s16, s16, s7
	s_cmp_lt_i32 s16, s10
	s_cselect_b64 s[0:1], -1, 0
	s_add_i32 s17, s17, s8
	s_cmp_lt_i32 s17, s13
	s_cselect_b64 s[2:3], -1, 0
	s_and_b64 s[0:1], s[0:1], s[2:3]
	s_andn2_b64 vcc, exec, s[0:1]
	s_cbranch_vccnz .LBB7_6
; %bb.1:
	s_mul_i32 s9, s9, s10
	s_load_dwordx4 s[0:3], s[4:5], 0x0
	s_mul_i32 s15, s15, s13
	s_add_i32 s4, s16, s9
	s_mul_i32 s4, s4, s11
	s_add_i32 s5, s17, s15
	s_add_i32 s5, s5, s4
	v_lshl_or_b32 v1, s5, 7, v0
	v_ashrrev_i32_e32 v2, 31, v1
	v_lshlrev_b64 v[1:2], 2, v[1:2]
	s_waitcnt lgkmcnt(0)
	v_mov_b32_e32 v3, s1
	v_add_co_u32_e32 v1, vcc, s0, v1
	v_addc_co_u32_e32 v2, vcc, v3, v2, vcc
	global_load_dword v8, v[1:2], off
	s_mul_i32 s9, s14, s6
	s_add_i32 s4, s9, s14
	s_add_i32 s0, s7, s4
	s_lshl_b32 s0, s0, 4
	s_add_i32 s0, s0, s8
	s_add_i32 s0, s0, -16
	s_ashr_i32 s1, s0, 31
	s_lshl_b64 s[0:1], s[0:1], 3
	s_add_u32 s0, s2, s0
	s_addc_u32 s1, s3, s1
	s_load_dword s5, s[0:1], 0x4
	s_add_i32 s10, s4, -2
	s_cmp_lt_i32 s10, s9
	s_cbranch_scc1 .LBB7_4
; %bb.2:
	s_lshl_b32 s10, s12, 6
	s_ashr_i32 s11, s10, 31
	s_lshl_b64 s[10:11], s[10:11], 2
	s_add_u32 s10, s2, s10
	s_addc_u32 s13, s3, s11
	s_load_dword s0, s[0:1], 0x0
	s_add_i32 s6, s6, 1
	s_lshl_b32 s1, s8, 7
	s_add_i32 s12, s7, s12
	s_mul_i32 s6, s14, s6
	s_lshl_b32 s7, s7, 11
	s_add_i32 s12, s12, s4
	s_lshl_b32 s6, s6, 11
	s_add_i32 s1, s1, s7
	s_add_i32 s11, s4, -1
	s_lshl_b32 s4, s12, 4
	s_add_i32 s1, s1, s6
	s_add_i32 s8, s8, s4
	v_or_b32_e32 v0, s1, v0
	s_sub_i32 s4, s8, 32
	v_add_u32_e32 v3, 0xfffff000, v0
	s_waitcnt lgkmcnt(0)
	v_mov_b32_e32 v7, s5
	v_mov_b32_e32 v6, s0
	;; [unrolled: 1-line block ×3, first 2 shown]
	s_mov_b32 s6, 0x3fb8aa3b
	s_mov_b32 s7, 0xc2ce8ed0
	;; [unrolled: 1-line block ×3, first 2 shown]
	v_mov_b32_e32 v5, 0x7f800000
	s_mov_b32 s12, 0xc1a00000
.LBB7_3:                                ; =>This Inner Loop Header: Depth=1
	v_ashrrev_i32_e32 v4, 31, v3
	v_lshlrev_b64 v[9:10], 2, v[3:4]
	s_ashr_i32 s5, s4, 31
	v_add_co_u32_e32 v9, vcc, s10, v9
	v_addc_co_u32_e32 v10, vcc, v0, v10, vcc
	global_load_dword v4, v[9:10], off
	s_lshl_b64 s[0:1], s[4:5], 3
	s_add_u32 s0, s2, s0
	s_addc_u32 s1, s3, s1
	s_load_dwordx2 s[14:15], s[0:1], 0x0
	s_waitcnt vmcnt(1)
	v_mov_b32_e32 v9, v8
	v_max_f32_e32 v8, v6, v6
	v_mov_b32_e32 v10, v7
	s_add_i32 s11, s11, -1
	s_waitcnt lgkmcnt(0)
	v_max_f32_e64 v7, s14, s14
	v_max_f32_e32 v7, v8, v7
	v_sub_f32_e32 v11, s14, v7
	v_sub_f32_e32 v8, v6, v7
	v_mul_f32_e32 v12, 0x3fb8aa3b, v11
	v_mov_b32_e32 v6, v7
	v_mul_f32_e32 v7, 0x3fb8aa3b, v8
	v_fma_f32 v15, v11, s6, -v12
	v_rndne_f32_e32 v16, v12
	v_fma_f32 v13, v8, s6, -v7
	v_rndne_f32_e32 v14, v7
	v_fmac_f32_e32 v15, 0x32a5705f, v11
	v_sub_f32_e32 v12, v12, v16
	v_fmac_f32_e32 v13, 0x32a5705f, v8
	v_sub_f32_e32 v7, v7, v14
	v_add_f32_e32 v12, v12, v15
	v_cvt_i32_f32_e32 v16, v16
	v_add_f32_e32 v7, v7, v13
	v_exp_f32_e32 v12, v12
	v_cvt_i32_f32_e32 v14, v14
	v_exp_f32_e32 v7, v7
	v_cmp_ngt_f32_e32 vcc, s7, v11
	v_ldexp_f32 v12, v12, v16
	v_cmp_ngt_f32_e64 s[0:1], s7, v8
	v_ldexp_f32 v7, v7, v14
	v_cndmask_b32_e32 v12, 0, v12, vcc
	v_cmp_nlt_f32_e32 vcc, s8, v11
	v_cndmask_b32_e64 v7, 0, v7, s[0:1]
	v_cmp_nlt_f32_e64 s[0:1], s8, v8
	v_cndmask_b32_e32 v12, v5, v12, vcc
	v_cmp_le_f32_e32 vcc, s12, v11
	v_cndmask_b32_e64 v7, v5, v7, s[0:1]
	v_cmp_le_f32_e64 s[0:1], s12, v8
	v_cndmask_b32_e32 v8, 0, v12, vcc
	s_add_i32 s4, s4, -16
	v_cndmask_b32_e64 v11, 0, v7, s[0:1]
	v_mul_f32_e32 v7, s15, v8
	v_add_u32_e32 v3, 0xfffff800, v3
	s_cmp_le_i32 s11, s9
	v_fmac_f32_e32 v7, v10, v11
	s_waitcnt vmcnt(0)
	v_mul_f32_e32 v8, v4, v8
	v_fmac_f32_e32 v8, v9, v11
	s_cbranch_scc0 .LBB7_3
	s_branch .LBB7_5
.LBB7_4:
	s_waitcnt lgkmcnt(0)
	v_mov_b32_e32 v7, s5
.LBB7_5:
	s_waitcnt vmcnt(0)
	v_div_scale_f32 v0, s[0:1], v7, v7, v8
	v_div_scale_f32 v3, vcc, v8, v7, v8
	v_rcp_f32_e32 v4, v0
	v_fma_f32 v5, -v0, v4, 1.0
	v_fmac_f32_e32 v4, v5, v4
	v_mul_f32_e32 v5, v3, v4
	v_fma_f32 v6, -v0, v5, v3
	v_fmac_f32_e32 v5, v6, v4
	v_fma_f32 v0, -v0, v5, v3
	v_div_fmas_f32 v0, v0, v4, v5
	v_div_fixup_f32 v0, v0, v7, v8
	global_store_dword v[1:2], v0, off
.LBB7_6:
	s_endpgm
	.section	.rodata,"a",@progbits
	.p2align	6, 0x0
	.amdhsa_kernel _ZL33flash_attn_stream_k_fixup_uniformILi128ELi1ELi16EEvPfPK15HIP_vector_typeIfLj2EEiiiiiiS1_IjLj3EES5_S5_
		.amdhsa_group_segment_fixed_size 0
		.amdhsa_private_segment_fixed_size 0
		.amdhsa_kernarg_size 76
		.amdhsa_user_sgpr_count 6
		.amdhsa_user_sgpr_private_segment_buffer 1
		.amdhsa_user_sgpr_dispatch_ptr 0
		.amdhsa_user_sgpr_queue_ptr 0
		.amdhsa_user_sgpr_kernarg_segment_ptr 1
		.amdhsa_user_sgpr_dispatch_id 0
		.amdhsa_user_sgpr_flat_scratch_init 0
		.amdhsa_user_sgpr_private_segment_size 0
		.amdhsa_uses_dynamic_stack 0
		.amdhsa_system_sgpr_private_segment_wavefront_offset 0
		.amdhsa_system_sgpr_workgroup_id_x 1
		.amdhsa_system_sgpr_workgroup_id_y 1
		.amdhsa_system_sgpr_workgroup_id_z 1
		.amdhsa_system_sgpr_workgroup_info 0
		.amdhsa_system_vgpr_workitem_id 0
		.amdhsa_next_free_vgpr 17
		.amdhsa_next_free_sgpr 20
		.amdhsa_reserve_vcc 1
		.amdhsa_reserve_flat_scratch 0
		.amdhsa_float_round_mode_32 0
		.amdhsa_float_round_mode_16_64 0
		.amdhsa_float_denorm_mode_32 3
		.amdhsa_float_denorm_mode_16_64 3
		.amdhsa_dx10_clamp 1
		.amdhsa_ieee_mode 1
		.amdhsa_fp16_overflow 0
		.amdhsa_exception_fp_ieee_invalid_op 0
		.amdhsa_exception_fp_denorm_src 0
		.amdhsa_exception_fp_ieee_div_zero 0
		.amdhsa_exception_fp_ieee_overflow 0
		.amdhsa_exception_fp_ieee_underflow 0
		.amdhsa_exception_fp_ieee_inexact 0
		.amdhsa_exception_int_div_zero 0
	.end_amdhsa_kernel
	.section	.text._ZL33flash_attn_stream_k_fixup_uniformILi128ELi1ELi16EEvPfPK15HIP_vector_typeIfLj2EEiiiiiiS1_IjLj3EES5_S5_,"axG",@progbits,_ZL33flash_attn_stream_k_fixup_uniformILi128ELi1ELi16EEvPfPK15HIP_vector_typeIfLj2EEiiiiiiS1_IjLj3EES5_S5_,comdat
.Lfunc_end7:
	.size	_ZL33flash_attn_stream_k_fixup_uniformILi128ELi1ELi16EEvPfPK15HIP_vector_typeIfLj2EEiiiiiiS1_IjLj3EES5_S5_, .Lfunc_end7-_ZL33flash_attn_stream_k_fixup_uniformILi128ELi1ELi16EEvPfPK15HIP_vector_typeIfLj2EEiiiiiiS1_IjLj3EES5_S5_
                                        ; -- End function
	.set _ZL33flash_attn_stream_k_fixup_uniformILi128ELi1ELi16EEvPfPK15HIP_vector_typeIfLj2EEiiiiiiS1_IjLj3EES5_S5_.num_vgpr, 17
	.set _ZL33flash_attn_stream_k_fixup_uniformILi128ELi1ELi16EEvPfPK15HIP_vector_typeIfLj2EEiiiiiiS1_IjLj3EES5_S5_.num_agpr, 0
	.set _ZL33flash_attn_stream_k_fixup_uniformILi128ELi1ELi16EEvPfPK15HIP_vector_typeIfLj2EEiiiiiiS1_IjLj3EES5_S5_.numbered_sgpr, 20
	.set _ZL33flash_attn_stream_k_fixup_uniformILi128ELi1ELi16EEvPfPK15HIP_vector_typeIfLj2EEiiiiiiS1_IjLj3EES5_S5_.num_named_barrier, 0
	.set _ZL33flash_attn_stream_k_fixup_uniformILi128ELi1ELi16EEvPfPK15HIP_vector_typeIfLj2EEiiiiiiS1_IjLj3EES5_S5_.private_seg_size, 0
	.set _ZL33flash_attn_stream_k_fixup_uniformILi128ELi1ELi16EEvPfPK15HIP_vector_typeIfLj2EEiiiiiiS1_IjLj3EES5_S5_.uses_vcc, 1
	.set _ZL33flash_attn_stream_k_fixup_uniformILi128ELi1ELi16EEvPfPK15HIP_vector_typeIfLj2EEiiiiiiS1_IjLj3EES5_S5_.uses_flat_scratch, 0
	.set _ZL33flash_attn_stream_k_fixup_uniformILi128ELi1ELi16EEvPfPK15HIP_vector_typeIfLj2EEiiiiiiS1_IjLj3EES5_S5_.has_dyn_sized_stack, 0
	.set _ZL33flash_attn_stream_k_fixup_uniformILi128ELi1ELi16EEvPfPK15HIP_vector_typeIfLj2EEiiiiiiS1_IjLj3EES5_S5_.has_recursion, 0
	.set _ZL33flash_attn_stream_k_fixup_uniformILi128ELi1ELi16EEvPfPK15HIP_vector_typeIfLj2EEiiiiiiS1_IjLj3EES5_S5_.has_indirect_call, 0
	.section	.AMDGPU.csdata,"",@progbits
; Kernel info:
; codeLenInByte = 828
; TotalNumSgprs: 24
; NumVgprs: 17
; ScratchSize: 0
; MemoryBound: 0
; FloatMode: 240
; IeeeMode: 1
; LDSByteSize: 0 bytes/workgroup (compile time only)
; SGPRBlocks: 2
; VGPRBlocks: 4
; NumSGPRsForWavesPerEU: 24
; NumVGPRsForWavesPerEU: 17
; Occupancy: 10
; WaveLimiterHint : 0
; COMPUTE_PGM_RSRC2:SCRATCH_EN: 0
; COMPUTE_PGM_RSRC2:USER_SGPR: 6
; COMPUTE_PGM_RSRC2:TRAP_HANDLER: 0
; COMPUTE_PGM_RSRC2:TGID_X_EN: 1
; COMPUTE_PGM_RSRC2:TGID_Y_EN: 1
; COMPUTE_PGM_RSRC2:TGID_Z_EN: 1
; COMPUTE_PGM_RSRC2:TIDIG_COMP_CNT: 0
	.section	.text._ZL33flash_attn_stream_k_fixup_generalILi128ELi1ELi16EEvPfPK15HIP_vector_typeIfLj2EEiiiiS1_IjLj3EES5_S5_S5_,"axG",@progbits,_ZL33flash_attn_stream_k_fixup_generalILi128ELi1ELi16EEvPfPK15HIP_vector_typeIfLj2EEiiiiS1_IjLj3EES5_S5_S5_,comdat
	.globl	_ZL33flash_attn_stream_k_fixup_generalILi128ELi1ELi16EEvPfPK15HIP_vector_typeIfLj2EEiiiiS1_IjLj3EES5_S5_S5_ ; -- Begin function _ZL33flash_attn_stream_k_fixup_generalILi128ELi1ELi16EEvPfPK15HIP_vector_typeIfLj2EEiiiiS1_IjLj3EES5_S5_S5_
	.p2align	8
	.type	_ZL33flash_attn_stream_k_fixup_generalILi128ELi1ELi16EEvPfPK15HIP_vector_typeIfLj2EEiiiiS1_IjLj3EES5_S5_S5_,@function
_ZL33flash_attn_stream_k_fixup_generalILi128ELi1ELi16EEvPfPK15HIP_vector_typeIfLj2EEiiiiS1_IjLj3EES5_S5_S5_: ; @_ZL33flash_attn_stream_k_fixup_generalILi128ELi1ELi16EEvPfPK15HIP_vector_typeIfLj2EEiiiiS1_IjLj3EES5_S5_S5_
; %bb.0:
	s_load_dwordx4 s[0:3], s[4:5], 0x10
	s_load_dword s9, s[4:5], 0x50
	s_mov_b32 s12, 0
	s_waitcnt lgkmcnt(0)
	s_mul_hi_i32 s13, s3, s6
	s_cmp_lg_u64 s[12:13], 0
	s_mul_i32 s18, s3, s6
	s_cbranch_scc0 .LBB8_20
; %bb.1:
	s_add_u32 s10, s9, 0
	s_addc_u32 s11, 0, 0
	s_xor_b64 s[10:11], s[10:11], 0
	v_cvt_f32_u32_e32 v1, s10
	v_cvt_f32_u32_e32 v2, s11
	s_sub_u32 s12, 0, s10
	s_subb_u32 s19, 0, s11
	v_madmk_f32 v1, v2, 0x4f800000, v1
	v_rcp_f32_e32 v1, v1
	v_mul_f32_e32 v1, 0x5f7ffffc, v1
	v_mul_f32_e32 v2, 0x2f800000, v1
	v_trunc_f32_e32 v2, v2
	v_madmk_f32 v1, v2, 0xcf800000, v1
	v_cvt_u32_f32_e32 v2, v2
	v_cvt_u32_f32_e32 v1, v1
	v_readfirstlane_b32 s20, v2
	v_readfirstlane_b32 s14, v1
	s_mul_i32 s15, s12, s20
	s_mul_hi_u32 s22, s12, s14
	s_mul_i32 s21, s19, s14
	s_add_i32 s15, s22, s15
	s_add_i32 s15, s15, s21
	s_mul_i32 s23, s12, s14
	s_mul_i32 s22, s14, s15
	s_mul_hi_u32 s24, s14, s23
	s_mul_hi_u32 s21, s14, s15
	s_add_u32 s22, s24, s22
	s_addc_u32 s21, 0, s21
	s_mul_hi_u32 s25, s20, s23
	s_mul_i32 s23, s20, s23
	s_add_u32 s22, s22, s23
	s_mul_hi_u32 s24, s20, s15
	s_addc_u32 s21, s21, s25
	s_addc_u32 s22, s24, 0
	s_mul_i32 s15, s20, s15
	s_add_u32 s15, s21, s15
	s_addc_u32 s21, 0, s22
	s_add_u32 s22, s14, s15
	s_cselect_b64 s[14:15], -1, 0
	s_cmp_lg_u64 s[14:15], 0
	s_addc_u32 s20, s20, s21
	s_mul_i32 s14, s12, s20
	s_mul_hi_u32 s15, s12, s22
	s_add_i32 s14, s15, s14
	s_mul_i32 s19, s19, s22
	s_add_i32 s14, s14, s19
	s_mul_i32 s12, s12, s22
	s_mul_hi_u32 s19, s20, s12
	s_mul_i32 s21, s20, s12
	s_mul_i32 s24, s22, s14
	s_mul_hi_u32 s12, s22, s12
	s_mul_hi_u32 s23, s22, s14
	s_add_u32 s12, s12, s24
	s_addc_u32 s23, 0, s23
	s_add_u32 s12, s12, s21
	s_mul_hi_u32 s15, s20, s14
	s_addc_u32 s12, s23, s19
	s_addc_u32 s15, s15, 0
	s_mul_i32 s14, s20, s14
	s_add_u32 s12, s12, s14
	s_addc_u32 s19, 0, s15
	s_add_u32 s21, s22, s12
	s_cselect_b64 s[14:15], -1, 0
	s_cmp_lg_u64 s[14:15], 0
	s_addc_u32 s19, s20, s19
	s_ashr_i32 s14, s13, 31
	s_add_u32 s12, s18, s14
	s_mov_b32 s15, s14
	s_addc_u32 s13, s13, s14
	s_xor_b64 s[12:13], s[12:13], s[14:15]
	s_mul_i32 s22, s12, s19
	s_mul_hi_u32 s23, s12, s21
	s_mul_hi_u32 s20, s12, s19
	s_add_u32 s22, s23, s22
	s_addc_u32 s20, 0, s20
	s_mul_hi_u32 s24, s13, s21
	s_mul_i32 s21, s13, s21
	s_add_u32 s21, s22, s21
	s_mul_hi_u32 s23, s13, s19
	s_addc_u32 s20, s20, s24
	s_addc_u32 s21, s23, 0
	s_mul_i32 s19, s13, s19
	s_add_u32 s19, s20, s19
	s_addc_u32 s24, 0, s21
	s_mul_i32 s20, s10, s24
	s_mul_hi_u32 s21, s10, s19
	s_add_i32 s20, s21, s20
	s_mul_i32 s21, s11, s19
	s_add_i32 s25, s20, s21
	s_sub_i32 s22, s13, s25
	s_mul_i32 s20, s10, s19
	s_sub_u32 s12, s12, s20
	s_cselect_b64 s[20:21], -1, 0
	s_cmp_lg_u64 s[20:21], 0
	s_subb_u32 s26, s22, s11
	s_sub_u32 s27, s12, s10
	s_cselect_b64 s[22:23], -1, 0
	s_cmp_lg_u64 s[22:23], 0
	s_subb_u32 s22, s26, 0
	s_cmp_ge_u32 s22, s11
	s_cselect_b32 s23, -1, 0
	s_cmp_ge_u32 s27, s10
	s_cselect_b32 s26, -1, 0
	s_cmp_eq_u32 s22, s11
	s_cselect_b32 s22, s26, s23
	s_add_u32 s23, s19, 1
	s_addc_u32 s26, s24, 0
	s_add_u32 s27, s19, 2
	s_addc_u32 s28, s24, 0
	s_cmp_lg_u32 s22, 0
	s_cselect_b32 s22, s27, s23
	s_cselect_b32 s23, s28, s26
	s_cmp_lg_u64 s[20:21], 0
	s_subb_u32 s13, s13, s25
	s_cmp_ge_u32 s13, s11
	s_cselect_b32 s20, -1, 0
	s_cmp_ge_u32 s12, s10
	s_cselect_b32 s10, -1, 0
	s_cmp_eq_u32 s13, s11
	s_cselect_b32 s10, s10, s20
	s_cmp_lg_u32 s10, 0
	s_cselect_b32 s11, s23, s24
	s_cselect_b32 s10, s22, s19
	s_xor_b64 s[12:13], s[14:15], 0
	s_xor_b64 s[10:11], s[10:11], s[12:13]
	s_sub_u32 s10, s10, s12
	s_load_dwordx4 s[12:15], s[4:5], 0x44
	s_cbranch_execnz .LBB8_3
.LBB8_2:
	v_cvt_f32_u32_e32 v1, s9
	s_sub_i32 s10, 0, s9
	v_rcp_iflag_f32_e32 v1, v1
	v_mul_f32_e32 v1, 0x4f7ffffe, v1
	v_cvt_u32_f32_e32 v1, v1
	v_readfirstlane_b32 s11, v1
	s_mul_i32 s10, s10, s11
	s_mul_hi_u32 s10, s11, s10
	s_add_i32 s11, s11, s10
	s_mul_hi_u32 s10, s18, s11
	s_waitcnt lgkmcnt(0)
	s_mul_i32 s15, s10, s9
	s_sub_i32 s15, s18, s15
	s_add_i32 s11, s10, 1
	s_sub_i32 s16, s15, s9
	s_cmp_ge_u32 s15, s9
	s_cselect_b32 s10, s11, s10
	s_cselect_b32 s15, s16, s15
	s_add_i32 s11, s10, 1
	s_cmp_ge_u32 s15, s9
	s_cselect_b32 s10, s11, s10
.LBB8_3:
	s_add_i32 s11, s6, 1
	s_mul_hi_i32 s21, s3, s11
	s_mov_b32 s20, 0
	s_cmp_lg_u64 s[20:21], 0
	s_mul_i32 s11, s3, s11
	s_cbranch_scc0 .LBB8_21
; %bb.4:
	s_add_u32 s16, s9, 0
	s_addc_u32 s17, 0, 0
	s_xor_b64 s[18:19], s[16:17], 0
	v_cvt_f32_u32_e32 v1, s18
	v_cvt_f32_u32_e32 v2, s19
	s_waitcnt lgkmcnt(0)
	s_sub_u32 s15, 0, s18
	s_subb_u32 s20, 0, s19
	v_madmk_f32 v1, v2, 0x4f800000, v1
	v_rcp_f32_e32 v1, v1
	v_mul_f32_e32 v1, 0x5f7ffffc, v1
	v_mul_f32_e32 v2, 0x2f800000, v1
	v_trunc_f32_e32 v2, v2
	v_madmk_f32 v1, v2, 0xcf800000, v1
	v_cvt_u32_f32_e32 v2, v2
	v_cvt_u32_f32_e32 v1, v1
	v_readfirstlane_b32 s24, v2
	v_readfirstlane_b32 s22, v1
	s_mul_i32 s23, s15, s24
	s_mul_hi_u32 s26, s15, s22
	s_mul_i32 s25, s20, s22
	s_add_i32 s23, s26, s23
	s_add_i32 s23, s23, s25
	s_mul_i32 s27, s15, s22
	s_mul_i32 s26, s22, s23
	s_mul_hi_u32 s28, s22, s27
	s_mul_hi_u32 s25, s22, s23
	s_add_u32 s26, s28, s26
	s_addc_u32 s25, 0, s25
	s_mul_hi_u32 s29, s24, s27
	s_mul_i32 s27, s24, s27
	s_add_u32 s26, s26, s27
	s_mul_hi_u32 s28, s24, s23
	s_addc_u32 s25, s25, s29
	s_addc_u32 s26, s28, 0
	s_mul_i32 s23, s24, s23
	s_add_u32 s23, s25, s23
	s_addc_u32 s25, 0, s26
	s_add_u32 s26, s22, s23
	s_cselect_b64 s[22:23], -1, 0
	s_cmp_lg_u64 s[22:23], 0
	s_addc_u32 s24, s24, s25
	s_mul_i32 s22, s15, s24
	s_mul_hi_u32 s23, s15, s26
	s_add_i32 s22, s23, s22
	s_mul_i32 s20, s20, s26
	s_add_i32 s22, s22, s20
	s_mul_i32 s15, s15, s26
	s_mul_hi_u32 s23, s24, s15
	s_mul_i32 s25, s24, s15
	s_mul_i32 s28, s26, s22
	s_mul_hi_u32 s15, s26, s15
	s_mul_hi_u32 s27, s26, s22
	s_add_u32 s15, s15, s28
	s_addc_u32 s27, 0, s27
	s_add_u32 s15, s15, s25
	s_mul_hi_u32 s20, s24, s22
	s_addc_u32 s15, s27, s23
	s_addc_u32 s20, s20, 0
	s_mul_i32 s22, s24, s22
	s_add_u32 s15, s15, s22
	s_addc_u32 s20, 0, s20
	s_add_u32 s15, s26, s15
	s_cselect_b64 s[22:23], -1, 0
	s_cmp_lg_u64 s[22:23], 0
	s_addc_u32 s24, s24, s20
	s_ashr_i32 s22, s21, 31
	s_add_u32 s20, s11, s22
	s_mov_b32 s23, s22
	s_addc_u32 s21, s21, s22
	s_xor_b64 s[20:21], s[20:21], s[22:23]
	s_mul_i32 s26, s20, s24
	s_mul_hi_u32 s27, s20, s15
	s_mul_hi_u32 s25, s20, s24
	s_add_u32 s26, s27, s26
	s_addc_u32 s25, 0, s25
	s_mul_hi_u32 s28, s21, s15
	s_mul_i32 s15, s21, s15
	s_add_u32 s15, s26, s15
	s_mul_hi_u32 s27, s21, s24
	s_addc_u32 s15, s25, s28
	s_addc_u32 s25, s27, 0
	s_mul_i32 s24, s21, s24
	s_add_u32 s15, s15, s24
	s_addc_u32 s28, 0, s25
	s_mul_i32 s24, s18, s28
	s_mul_hi_u32 s25, s18, s15
	s_add_i32 s24, s25, s24
	s_mul_i32 s25, s19, s15
	s_add_i32 s29, s24, s25
	s_sub_i32 s26, s21, s29
	s_mul_i32 s24, s18, s15
	s_sub_u32 s20, s20, s24
	s_cselect_b64 s[24:25], -1, 0
	s_cmp_lg_u64 s[24:25], 0
	s_subb_u32 s30, s26, s19
	s_sub_u32 s31, s20, s18
	s_cselect_b64 s[26:27], -1, 0
	s_cmp_lg_u64 s[26:27], 0
	s_subb_u32 s26, s30, 0
	s_cmp_ge_u32 s26, s19
	s_cselect_b32 s27, -1, 0
	s_cmp_ge_u32 s31, s18
	s_cselect_b32 s30, -1, 0
	s_cmp_eq_u32 s26, s19
	s_cselect_b32 s26, s30, s27
	s_add_u32 s27, s15, 1
	s_addc_u32 s30, s28, 0
	s_add_u32 s31, s15, 2
	s_addc_u32 s33, s28, 0
	s_cmp_lg_u32 s26, 0
	s_cselect_b32 s26, s31, s27
	s_cselect_b32 s27, s33, s30
	s_cmp_lg_u64 s[24:25], 0
	s_subb_u32 s21, s21, s29
	s_cmp_ge_u32 s21, s19
	s_cselect_b32 s24, -1, 0
	s_cmp_ge_u32 s20, s18
	s_cselect_b32 s18, -1, 0
	s_cmp_eq_u32 s21, s19
	s_cselect_b32 s18, s18, s24
	s_cmp_lg_u32 s18, 0
	s_cselect_b32 s19, s27, s28
	s_cselect_b32 s18, s26, s15
	s_xor_b64 s[20:21], s[22:23], 0
	s_xor_b64 s[18:19], s[18:19], s[20:21]
	s_sub_u32 s18, s18, s20
	s_cbranch_execnz .LBB8_6
.LBB8_5:
	v_cvt_f32_u32_e32 v1, s9
	s_waitcnt lgkmcnt(0)
	s_sub_i32 s15, 0, s9
	v_rcp_iflag_f32_e32 v1, v1
	v_mul_f32_e32 v1, 0x4f7ffffe, v1
	v_cvt_u32_f32_e32 v1, v1
	v_readfirstlane_b32 s16, v1
	s_mul_i32 s15, s15, s16
	s_mul_hi_u32 s15, s16, s15
	s_add_i32 s16, s16, s15
	s_mul_hi_u32 s15, s11, s16
	s_mul_i32 s17, s15, s9
	s_sub_i32 s11, s11, s17
	s_add_i32 s16, s15, 1
	s_sub_i32 s17, s11, s9
	s_cmp_ge_u32 s11, s9
	s_cselect_b32 s15, s16, s15
	s_cselect_b32 s11, s17, s11
	s_add_i32 s16, s15, 1
	s_cmp_ge_u32 s11, s9
	s_cselect_b32 s18, s16, s15
.LBB8_6:
	s_cmp_eq_u32 s10, s18
	s_waitcnt lgkmcnt(0)
	s_mul_hi_u32 s11, s10, s12
	s_cselect_b64 s[16:17], -1, 0
	s_add_i32 s11, s11, s10
	s_lshr_b32 s11, s11, s13
	s_mul_i32 s15, s11, s14
	s_cmp_eq_u32 s15, s10
	s_mul_hi_u32 s15, s18, s12
	s_cselect_b64 s[20:21], -1, 0
	s_add_i32 s15, s15, s18
	s_lshr_b32 s15, s15, s13
	s_cmp_eq_u32 s11, s15
	s_mul_i32 s15, s15, s14
	s_cselect_b64 s[22:23], -1, 0
	s_cmp_lg_u32 s15, s18
	s_cselect_b64 s[18:19], -1, 0
	s_and_b64 s[18:19], s[22:23], s[18:19]
	s_or_b64 s[16:17], s[16:17], s[20:21]
	s_or_b64 s[16:17], s[16:17], s[18:19]
	s_and_b64 vcc, exec, s[16:17]
	s_cbranch_vccnz .LBB8_23
; %bb.7:
	s_load_dwordx8 s[20:27], s[4:5], 0x20
	s_load_dword s15, s[4:5], 0x40
	s_waitcnt lgkmcnt(0)
	s_mul_hi_u32 s16, s10, s20
	s_add_i32 s16, s16, s10
	s_lshr_b32 s20, s16, s21
	s_mul_i32 s16, s20, s22
	s_sub_i32 s16, s10, s16
	s_mul_hi_u32 s17, s16, s23
	s_add_i32 s17, s16, s17
	s_lshr_b32 s21, s17, s24
	s_mul_i32 s17, s21, s25
	s_sub_i32 s16, s16, s17
	;; [unrolled: 5-line block ×3, first 2 shown]
	s_mul_hi_u32 s16, s15, s12
	s_add_i32 s15, s15, s16
	s_lshr_b32 s23, s15, s13
	s_lshl_b32 s24, s17, 4
	s_add_i32 s23, s23, s7
	s_cmp_lt_i32 s23, s0
	s_cselect_b64 s[16:17], -1, 0
	s_add_i32 s24, s24, s8
	s_cmp_lt_i32 s24, s2
	s_cselect_b64 s[18:19], -1, 0
	s_and_b64 s[16:17], s[16:17], s[18:19]
	s_andn2_b64 vcc, exec, s[16:17]
	s_cbranch_vccnz .LBB8_23
; %bb.8:
	s_load_dwordx4 s[16:19], s[4:5], 0x0
	s_mov_b32 s4, 0
	s_lshl_b32 s26, s9, 6
	s_mov_b32 s27, s4
	s_lshl_b64 s[26:27], s[26:27], 2
	s_waitcnt lgkmcnt(0)
	s_add_u32 s15, s18, s26
	s_mul_i32 s20, s20, s0
	s_addc_u32 s22, s19, s27
	s_mul_i32 s21, s21, s2
	s_add_i32 s0, s23, s20
	s_mul_i32 s0, s0, s1
	s_add_i32 s1, s24, s21
	s_add_i32 s1, s1, s0
	v_lshl_or_b32 v1, s1, 7, v0
	v_ashrrev_i32_e32 v2, 31, v1
	v_lshlrev_b64 v[1:2], 2, v[1:2]
	v_mov_b32_e32 v3, s17
	v_add_co_u32_e32 v1, vcc, s16, v1
	v_addc_co_u32_e32 v2, vcc, v3, v2, vcc
	global_load_dword v3, v[1:2], off
	s_add_i32 s0, s7, s6
	v_cvt_f32_u32_e32 v4, s9
	s_lshl_b32 s0, s0, 4
	s_add_i32 s0, s0, s8
	s_ashr_i32 s1, s0, 31
	s_lshl_b64 s[0:1], s[0:1], 3
	v_rcp_iflag_f32_e32 v4, v4
	s_add_u32 s0, s18, s0
	s_addc_u32 s1, s19, s1
	s_load_dwordx2 s[0:1], s[0:1], 0x0
	v_mul_f32_e32 v4, 0x4f7ffffe, v4
	v_cvt_u32_f32_e32 v4, v4
	s_add_i32 s25, s6, -1
	v_lshl_or_b32 v0, s8, 7, v0
	s_waitcnt lgkmcnt(0)
	v_mov_b32_e32 v6, s1
	v_mov_b32_e32 v7, s0
	s_mov_b32 s2, 0x3fb8aa3b
	s_mov_b32 s6, 0xc2ce8ed0
	;; [unrolled: 1-line block ×4, first 2 shown]
	v_mov_b32_e32 v5, 0x7f800000
	s_mul_hi_i32 s5, s25, s3
	s_cmp_lg_u64 s[4:5], 0
	s_mul_i32 s20, s25, s3
	s_cbranch_scc0 .LBB8_19
.LBB8_9:
	s_add_u32 s0, s9, 0
	s_addc_u32 s1, 0, 0
	s_xor_b64 s[0:1], s[0:1], 0
	v_cvt_f32_u32_e32 v8, s0
	v_cvt_f32_u32_e32 v9, s1
	s_sub_u32 s21, 0, s0
	s_subb_u32 s26, 0, s1
	v_mac_f32_e32 v8, 0x4f800000, v9
	v_rcp_f32_e32 v8, v8
	v_mul_f32_e32 v8, 0x5f7ffffc, v8
	v_mul_f32_e32 v9, 0x2f800000, v8
	v_trunc_f32_e32 v9, v9
	v_mac_f32_e32 v8, 0xcf800000, v9
	v_cvt_u32_f32_e32 v9, v9
	v_cvt_u32_f32_e32 v8, v8
	v_readfirstlane_b32 s27, v9
	v_readfirstlane_b32 s16, v8
	s_mul_i32 s17, s21, s27
	s_mul_hi_u32 s29, s21, s16
	s_mul_i32 s28, s26, s16
	s_add_i32 s17, s29, s17
	s_mul_i32 s30, s21, s16
	s_add_i32 s17, s17, s28
	s_mul_i32 s29, s16, s17
	s_mul_hi_u32 s31, s16, s30
	s_mul_hi_u32 s28, s16, s17
	s_add_u32 s29, s31, s29
	s_addc_u32 s28, 0, s28
	s_mul_hi_u32 s33, s27, s30
	s_mul_i32 s30, s27, s30
	s_add_u32 s29, s29, s30
	s_mul_hi_u32 s31, s27, s17
	s_addc_u32 s28, s28, s33
	s_addc_u32 s29, s31, 0
	s_mul_i32 s17, s27, s17
	s_add_u32 s17, s28, s17
	s_addc_u32 s28, 0, s29
	s_add_u32 s29, s16, s17
	s_cselect_b64 s[16:17], -1, 0
	s_cmp_lg_u64 s[16:17], 0
	s_addc_u32 s27, s27, s28
	s_mul_i32 s16, s21, s27
	s_mul_hi_u32 s17, s21, s29
	s_add_i32 s16, s17, s16
	s_mul_i32 s26, s26, s29
	s_add_i32 s16, s16, s26
	s_mul_i32 s21, s21, s29
	s_mul_hi_u32 s26, s27, s21
	s_mul_i32 s28, s27, s21
	s_mul_i32 s31, s29, s16
	s_mul_hi_u32 s21, s29, s21
	s_mul_hi_u32 s30, s29, s16
	s_add_u32 s21, s21, s31
	s_addc_u32 s30, 0, s30
	s_add_u32 s21, s21, s28
	s_mul_hi_u32 s17, s27, s16
	s_addc_u32 s21, s30, s26
	s_addc_u32 s17, s17, 0
	s_mul_i32 s16, s27, s16
	s_add_u32 s16, s21, s16
	s_addc_u32 s21, 0, s17
	s_add_u32 s28, s29, s16
	s_cselect_b64 s[16:17], -1, 0
	s_cmp_lg_u64 s[16:17], 0
	s_addc_u32 s21, s27, s21
	s_ashr_i32 s16, s5, 31
	s_add_u32 s26, s20, s16
	s_mov_b32 s17, s16
	s_addc_u32 s27, s5, s16
	s_xor_b64 s[26:27], s[26:27], s[16:17]
	s_mul_i32 s29, s26, s21
	s_mul_hi_u32 s30, s26, s28
	s_mul_hi_u32 s5, s26, s21
	s_add_u32 s29, s30, s29
	s_addc_u32 s5, 0, s5
	s_mul_hi_u32 s31, s27, s28
	s_mul_i32 s28, s27, s28
	s_add_u32 s28, s29, s28
	s_mul_hi_u32 s30, s27, s21
	s_addc_u32 s5, s5, s31
	s_addc_u32 s28, s30, 0
	s_mul_i32 s21, s27, s21
	s_add_u32 s5, s5, s21
	s_addc_u32 s21, 0, s28
	s_mul_i32 s28, s0, s21
	s_mul_hi_u32 s29, s0, s5
	s_add_i32 s28, s29, s28
	s_mul_i32 s29, s1, s5
	s_add_i32 s33, s28, s29
	s_sub_i32 s30, s27, s33
	s_mul_i32 s28, s0, s5
	s_sub_u32 s26, s26, s28
	s_cselect_b64 s[28:29], -1, 0
	s_cmp_lg_u64 s[28:29], 0
	s_subb_u32 s34, s30, s1
	s_sub_u32 s35, s26, s0
	s_cselect_b64 s[30:31], -1, 0
	s_cmp_lg_u64 s[30:31], 0
	s_subb_u32 s30, s34, 0
	s_cmp_ge_u32 s30, s1
	s_cselect_b32 s31, -1, 0
	s_cmp_ge_u32 s35, s0
	s_cselect_b32 s34, -1, 0
	s_cmp_eq_u32 s30, s1
	s_cselect_b32 s30, s34, s31
	s_add_u32 s31, s5, 1
	s_addc_u32 s34, s21, 0
	s_add_u32 s35, s5, 2
	s_addc_u32 s36, s21, 0
	s_cmp_lg_u32 s30, 0
	s_cselect_b32 s30, s35, s31
	s_cselect_b32 s31, s36, s34
	s_cmp_lg_u64 s[28:29], 0
	s_subb_u32 s27, s27, s33
	s_cmp_ge_u32 s27, s1
	s_cselect_b32 s28, -1, 0
	s_cmp_ge_u32 s26, s0
	s_cselect_b32 s0, -1, 0
	s_cmp_eq_u32 s27, s1
	s_cselect_b32 s0, s0, s28
	s_cmp_lg_u32 s0, 0
	s_cselect_b32 s1, s31, s21
	s_cselect_b32 s0, s30, s5
	s_xor_b64 s[16:17], s[16:17], 0
	s_xor_b64 s[0:1], s[0:1], s[16:17]
	s_sub_u32 s16, s0, s16
	s_cbranch_execnz .LBB8_11
.LBB8_10:
	s_sub_i32 s0, 0, s9
	v_readfirstlane_b32 s1, v4
	s_mul_i32 s0, s0, s1
	s_mul_hi_u32 s0, s1, s0
	s_add_i32 s1, s1, s0
	s_mul_hi_u32 s0, s20, s1
	s_mul_i32 s5, s0, s9
	s_sub_i32 s5, s20, s5
	s_add_i32 s1, s0, 1
	s_sub_i32 s16, s5, s9
	s_cmp_ge_u32 s5, s9
	s_cselect_b32 s0, s1, s0
	s_cselect_b32 s5, s16, s5
	s_add_i32 s1, s0, 1
	s_cmp_ge_u32 s5, s9
	s_cselect_b32 s16, s1, s0
.LBB8_11:
	s_cmp_lg_u32 s10, s16
	s_mov_b64 s[20:21], -1
                                        ; implicit-def: $sgpr0_sgpr1
                                        ; implicit-def: $vgpr10
                                        ; implicit-def: $vgpr8
                                        ; implicit-def: $vgpr9
                                        ; implicit-def: $sgpr5
                                        ; implicit-def: $sgpr17
	s_cbranch_scc1 .LBB8_14
; %bb.12:
	s_andn2_b64 vcc, exec, s[20:21]
	s_cbranch_vccz .LBB8_17
.LBB8_13:
	s_andn2_b64 vcc, exec, s[0:1]
	s_cbranch_vccnz .LBB8_18
	s_branch .LBB8_22
.LBB8_14:
	s_add_i32 s26, s25, s7
	s_add_i32 s0, s26, s9
	s_lshl_b32 s0, s0, 4
	s_add_i32 s0, s0, s8
	s_mov_b32 s1, s4
	s_lshl_b64 s[0:1], s[0:1], 3
	s_add_u32 s20, s18, s0
	s_mul_hi_u32 s0, s16, s12
	s_addc_u32 s21, s19, s1
	s_add_i32 s0, s0, s16
	s_lshr_b32 s5, s0, s13
	s_mul_i32 s0, s5, s14
	s_cmp_eq_u32 s0, s16
	s_cselect_b64 s[0:1], -1, 0
	s_cmp_lt_u32 s5, s11
	s_cselect_b64 s[28:29], -1, 0
	s_or_b64 s[28:29], s[28:29], s[0:1]
	s_mov_b64 s[0:1], -1
	s_and_b64 vcc, exec, s[28:29]
	s_mov_b32 s5, s25
	s_mov_b32 s17, s10
	s_cbranch_vccnz .LBB8_16
; %bb.15:
	s_add_i32 s5, s25, -1
	s_mov_b64 s[0:1], 0
	s_mov_b32 s17, s16
.LBB8_16:
	v_lshl_add_u32 v8, s26, 11, v0
	v_ashrrev_i32_e32 v9, 31, v8
	v_lshlrev_b64 v[8:9], 2, v[8:9]
	v_mov_b32_e32 v10, s22
	v_add_co_u32_e32 v8, vcc, s15, v8
	v_addc_co_u32_e32 v9, vcc, v10, v9, vcc
	global_load_dword v10, v[8:9], off
	s_load_dwordx2 s[20:21], s[20:21], 0x0
	v_max_f32_e32 v8, v7, v7
	s_waitcnt lgkmcnt(0)
	v_max_f32_e64 v9, s20, s20
	v_max_f32_e32 v8, v8, v9
	v_sub_f32_e32 v9, v7, v8
	v_sub_f32_e32 v11, s20, v8
	v_mul_f32_e32 v12, 0x3fb8aa3b, v9
	v_mul_f32_e32 v13, 0x3fb8aa3b, v11
	v_fma_f32 v14, v9, s2, -v12
	v_rndne_f32_e32 v15, v12
	v_fma_f32 v16, v11, s2, -v13
	v_rndne_f32_e32 v17, v13
	v_fmac_f32_e32 v14, 0x32a5705f, v9
	v_sub_f32_e32 v12, v12, v15
	v_fmac_f32_e32 v16, 0x32a5705f, v11
	v_sub_f32_e32 v13, v13, v17
	v_add_f32_e32 v12, v12, v14
	v_cvt_i32_f32_e32 v15, v15
	v_add_f32_e32 v13, v13, v16
	v_exp_f32_e32 v12, v12
	v_cvt_i32_f32_e32 v17, v17
	v_exp_f32_e32 v13, v13
	v_cmp_ngt_f32_e32 vcc, s6, v9
	v_ldexp_f32 v12, v12, v15
	v_cndmask_b32_e32 v12, 0, v12, vcc
	v_ldexp_f32 v13, v13, v17
	v_cmp_ngt_f32_e32 vcc, s6, v11
	v_cndmask_b32_e32 v13, 0, v13, vcc
	v_cmp_nlt_f32_e32 vcc, s23, v9
	v_cndmask_b32_e32 v12, v5, v12, vcc
	v_cmp_nlt_f32_e32 vcc, s23, v11
	v_cndmask_b32_e32 v13, v5, v13, vcc
	v_cmp_le_f32_e32 vcc, s24, v9
	v_cndmask_b32_e32 v12, 0, v12, vcc
	v_cmp_le_f32_e32 vcc, s24, v11
	v_cndmask_b32_e32 v11, 0, v13, vcc
	v_mul_f32_e32 v9, s21, v11
	v_fmac_f32_e32 v9, v6, v12
	s_waitcnt vmcnt(0)
	v_mul_f32_e32 v10, v10, v11
	v_fmac_f32_e32 v10, v3, v12
	s_cbranch_execnz .LBB8_13
.LBB8_17:
	s_add_i32 s5, s25, -1
	s_mov_b32 s17, s10
	v_mov_b32_e32 v9, v6
	v_mov_b32_e32 v8, v7
	s_waitcnt vmcnt(0)
	v_mov_b32_e32 v10, v3
	s_cbranch_execz .LBB8_22
.LBB8_18:
	s_mov_b32 s10, s17
	s_mov_b32 s25, s5
	v_mov_b32_e32 v6, v9
	v_mov_b32_e32 v7, v8
	s_waitcnt vmcnt(0)
	v_mov_b32_e32 v3, v10
	s_mul_hi_i32 s5, s25, s3
	s_cmp_lg_u64 s[4:5], 0
	s_mul_i32 s20, s25, s3
	s_cbranch_scc1 .LBB8_9
.LBB8_19:
                                        ; implicit-def: $sgpr16_sgpr17
	s_branch .LBB8_10
.LBB8_20:
                                        ; implicit-def: $sgpr10_sgpr11
	s_load_dwordx4 s[12:15], s[4:5], 0x44
	s_branch .LBB8_2
.LBB8_21:
                                        ; implicit-def: $sgpr18_sgpr19
	s_branch .LBB8_5
.LBB8_22:
	v_div_scale_f32 v0, s[0:1], v9, v9, v10
	s_waitcnt vmcnt(0)
	v_div_scale_f32 v3, vcc, v10, v9, v10
	v_rcp_f32_e32 v4, v0
	v_fma_f32 v5, -v0, v4, 1.0
	v_fmac_f32_e32 v4, v5, v4
	v_mul_f32_e32 v5, v3, v4
	v_fma_f32 v6, -v0, v5, v3
	v_fmac_f32_e32 v5, v6, v4
	v_fma_f32 v0, -v0, v5, v3
	v_div_fmas_f32 v0, v0, v4, v5
	v_div_fixup_f32 v0, v0, v9, v10
	global_store_dword v[1:2], v0, off
.LBB8_23:
	s_endpgm
	.section	.rodata,"a",@progbits
	.p2align	6, 0x0
	.amdhsa_kernel _ZL33flash_attn_stream_k_fixup_generalILi128ELi1ELi16EEvPfPK15HIP_vector_typeIfLj2EEiiiiS1_IjLj3EES5_S5_S5_
		.amdhsa_group_segment_fixed_size 0
		.amdhsa_private_segment_fixed_size 0
		.amdhsa_kernarg_size 336
		.amdhsa_user_sgpr_count 6
		.amdhsa_user_sgpr_private_segment_buffer 1
		.amdhsa_user_sgpr_dispatch_ptr 0
		.amdhsa_user_sgpr_queue_ptr 0
		.amdhsa_user_sgpr_kernarg_segment_ptr 1
		.amdhsa_user_sgpr_dispatch_id 0
		.amdhsa_user_sgpr_flat_scratch_init 0
		.amdhsa_user_sgpr_private_segment_size 0
		.amdhsa_uses_dynamic_stack 0
		.amdhsa_system_sgpr_private_segment_wavefront_offset 0
		.amdhsa_system_sgpr_workgroup_id_x 1
		.amdhsa_system_sgpr_workgroup_id_y 1
		.amdhsa_system_sgpr_workgroup_id_z 1
		.amdhsa_system_sgpr_workgroup_info 0
		.amdhsa_system_vgpr_workitem_id 0
		.amdhsa_next_free_vgpr 18
		.amdhsa_next_free_sgpr 37
		.amdhsa_reserve_vcc 1
		.amdhsa_reserve_flat_scratch 0
		.amdhsa_float_round_mode_32 0
		.amdhsa_float_round_mode_16_64 0
		.amdhsa_float_denorm_mode_32 3
		.amdhsa_float_denorm_mode_16_64 3
		.amdhsa_dx10_clamp 1
		.amdhsa_ieee_mode 1
		.amdhsa_fp16_overflow 0
		.amdhsa_exception_fp_ieee_invalid_op 0
		.amdhsa_exception_fp_denorm_src 0
		.amdhsa_exception_fp_ieee_div_zero 0
		.amdhsa_exception_fp_ieee_overflow 0
		.amdhsa_exception_fp_ieee_underflow 0
		.amdhsa_exception_fp_ieee_inexact 0
		.amdhsa_exception_int_div_zero 0
	.end_amdhsa_kernel
	.section	.text._ZL33flash_attn_stream_k_fixup_generalILi128ELi1ELi16EEvPfPK15HIP_vector_typeIfLj2EEiiiiS1_IjLj3EES5_S5_S5_,"axG",@progbits,_ZL33flash_attn_stream_k_fixup_generalILi128ELi1ELi16EEvPfPK15HIP_vector_typeIfLj2EEiiiiS1_IjLj3EES5_S5_S5_,comdat
.Lfunc_end8:
	.size	_ZL33flash_attn_stream_k_fixup_generalILi128ELi1ELi16EEvPfPK15HIP_vector_typeIfLj2EEiiiiS1_IjLj3EES5_S5_S5_, .Lfunc_end8-_ZL33flash_attn_stream_k_fixup_generalILi128ELi1ELi16EEvPfPK15HIP_vector_typeIfLj2EEiiiiS1_IjLj3EES5_S5_S5_
                                        ; -- End function
	.set _ZL33flash_attn_stream_k_fixup_generalILi128ELi1ELi16EEvPfPK15HIP_vector_typeIfLj2EEiiiiS1_IjLj3EES5_S5_S5_.num_vgpr, 18
	.set _ZL33flash_attn_stream_k_fixup_generalILi128ELi1ELi16EEvPfPK15HIP_vector_typeIfLj2EEiiiiS1_IjLj3EES5_S5_S5_.num_agpr, 0
	.set _ZL33flash_attn_stream_k_fixup_generalILi128ELi1ELi16EEvPfPK15HIP_vector_typeIfLj2EEiiiiS1_IjLj3EES5_S5_S5_.numbered_sgpr, 37
	.set _ZL33flash_attn_stream_k_fixup_generalILi128ELi1ELi16EEvPfPK15HIP_vector_typeIfLj2EEiiiiS1_IjLj3EES5_S5_S5_.num_named_barrier, 0
	.set _ZL33flash_attn_stream_k_fixup_generalILi128ELi1ELi16EEvPfPK15HIP_vector_typeIfLj2EEiiiiS1_IjLj3EES5_S5_S5_.private_seg_size, 0
	.set _ZL33flash_attn_stream_k_fixup_generalILi128ELi1ELi16EEvPfPK15HIP_vector_typeIfLj2EEiiiiS1_IjLj3EES5_S5_S5_.uses_vcc, 1
	.set _ZL33flash_attn_stream_k_fixup_generalILi128ELi1ELi16EEvPfPK15HIP_vector_typeIfLj2EEiiiiS1_IjLj3EES5_S5_S5_.uses_flat_scratch, 0
	.set _ZL33flash_attn_stream_k_fixup_generalILi128ELi1ELi16EEvPfPK15HIP_vector_typeIfLj2EEiiiiS1_IjLj3EES5_S5_S5_.has_dyn_sized_stack, 0
	.set _ZL33flash_attn_stream_k_fixup_generalILi128ELi1ELi16EEvPfPK15HIP_vector_typeIfLj2EEiiiiS1_IjLj3EES5_S5_S5_.has_recursion, 0
	.set _ZL33flash_attn_stream_k_fixup_generalILi128ELi1ELi16EEvPfPK15HIP_vector_typeIfLj2EEiiiiS1_IjLj3EES5_S5_S5_.has_indirect_call, 0
	.section	.AMDGPU.csdata,"",@progbits
; Kernel info:
; codeLenInByte = 2920
; TotalNumSgprs: 41
; NumVgprs: 18
; ScratchSize: 0
; MemoryBound: 0
; FloatMode: 240
; IeeeMode: 1
; LDSByteSize: 0 bytes/workgroup (compile time only)
; SGPRBlocks: 5
; VGPRBlocks: 4
; NumSGPRsForWavesPerEU: 41
; NumVGPRsForWavesPerEU: 18
; Occupancy: 10
; WaveLimiterHint : 0
; COMPUTE_PGM_RSRC2:SCRATCH_EN: 0
; COMPUTE_PGM_RSRC2:USER_SGPR: 6
; COMPUTE_PGM_RSRC2:TRAP_HANDLER: 0
; COMPUTE_PGM_RSRC2:TGID_X_EN: 1
; COMPUTE_PGM_RSRC2:TGID_Y_EN: 1
; COMPUTE_PGM_RSRC2:TGID_Z_EN: 1
; COMPUTE_PGM_RSRC2:TIDIG_COMP_CNT: 0
	.section	.text._ZL15flash_attn_tileILi192ELi128ELi4ELi8ELb0EEvPKcS1_S1_S1_S1_PKiPfP15HIP_vector_typeIfLj2EEffffjfiS5_IjLj3EEiiiiiiiiiiiliiliiiiil,"axG",@progbits,_ZL15flash_attn_tileILi192ELi128ELi4ELi8ELb0EEvPKcS1_S1_S1_S1_PKiPfP15HIP_vector_typeIfLj2EEffffjfiS5_IjLj3EEiiiiiiiiiiiliiliiiiil,comdat
	.globl	_ZL15flash_attn_tileILi192ELi128ELi4ELi8ELb0EEvPKcS1_S1_S1_S1_PKiPfP15HIP_vector_typeIfLj2EEffffjfiS5_IjLj3EEiiiiiiiiiiiliiliiiiil ; -- Begin function _ZL15flash_attn_tileILi192ELi128ELi4ELi8ELb0EEvPKcS1_S1_S1_S1_PKiPfP15HIP_vector_typeIfLj2EEffffjfiS5_IjLj3EEiiiiiiiiiiiliiliiiiil
	.p2align	8
	.type	_ZL15flash_attn_tileILi192ELi128ELi4ELi8ELb0EEvPKcS1_S1_S1_S1_PKiPfP15HIP_vector_typeIfLj2EEffffjfiS5_IjLj3EEiiiiiiiiiiiliiliiiiil,@function
_ZL15flash_attn_tileILi192ELi128ELi4ELi8ELb0EEvPKcS1_S1_S1_S1_PKiPfP15HIP_vector_typeIfLj2EEffffjfiS5_IjLj3EEiiiiiiiiiiiliiliiiiil: ; @_ZL15flash_attn_tileILi192ELi128ELi4ELi8ELb0EEvPKcS1_S1_S1_S1_PKiPfP15HIP_vector_typeIfLj2EEffffjfiS5_IjLj3EEiiiiiiiiiiiliiliiiiil
; %bb.0:
	s_load_dwordx4 s[0:3], s[4:5], 0x5c
	s_load_dwordx2 s[24:25], s[4:5], 0x80
	s_load_dwordx2 s[28:29], s[4:5], 0xb8
	s_mov_b64 s[26:27], 0
	s_waitcnt lgkmcnt(0)
	s_ashr_i32 s9, s3, 31
	s_lshr_b32 s9, s9, 29
	s_add_i32 s9, s3, s9
	s_ashr_i32 s9, s9, 3
	v_cvt_f32_u32_e32 v2, s9
	s_sub_i32 s10, 0, s9
	v_rcp_iflag_f32_e32 v2, v2
	v_mul_f32_e32 v2, 0x4f7ffffe, v2
	v_cvt_u32_f32_e32 v2, v2
	v_readfirstlane_b32 s11, v2
	s_mul_i32 s10, s10, s11
	s_mul_hi_u32 s10, s11, s10
	s_add_i32 s11, s11, s10
	s_mul_hi_u32 s10, s8, s11
	s_mul_i32 s11, s10, s9
	s_sub_i32 s11, s8, s11
	s_add_i32 s12, s10, 1
	s_sub_i32 s13, s11, s9
	s_cmp_ge_u32 s11, s9
	s_cselect_b32 s10, s12, s10
	s_cselect_b32 s11, s13, s11
	s_add_i32 s12, s10, 1
	s_cmp_ge_u32 s11, s9
	s_cselect_b32 s30, s12, s10
	s_abs_i32 s9, s25
	v_cvt_f32_u32_e32 v2, s9
	s_lshl_b32 s8, s8, 3
	s_mul_i32 s12, s30, s3
	s_xor_b32 s10, s3, s25
	v_rcp_iflag_f32_e32 v2, v2
	s_sub_i32 s13, 0, s9
	s_sub_i32 s25, s8, s12
	s_abs_i32 s11, s3
	v_mul_f32_e32 v2, 0x4f7ffffe, v2
	v_cvt_u32_f32_e32 v2, v2
	s_ashr_i32 s10, s10, 31
	v_readfirstlane_b32 s8, v2
	s_mul_i32 s13, s13, s8
	s_mul_hi_u32 s12, s8, s13
	s_add_i32 s8, s8, s12
	s_mul_hi_u32 s8, s11, s8
	s_mul_i32 s12, s8, s9
	s_sub_i32 s11, s11, s12
	s_add_i32 s13, s8, 1
	s_sub_i32 s12, s11, s9
	s_cmp_ge_u32 s11, s9
	s_cselect_b32 s8, s13, s8
	s_cselect_b32 s11, s12, s11
	s_add_i32 s12, s8, 1
	s_cmp_ge_u32 s11, s9
	s_cselect_b32 s8, s12, s8
	s_xor_b32 s8, s8, s10
	s_sub_i32 s33, s8, s10
	s_abs_i32 s31, s33
	v_cvt_f32_u32_e32 v2, s31
	s_load_dwordx16 s[8:23], s[4:5], 0x0
	v_rcp_iflag_f32_e32 v2, v2
	s_waitcnt lgkmcnt(0)
	s_cmp_eq_u64 s[14:15], 0
	v_mul_f32_e32 v2, 0x4f7ffffe, v2
	v_cvt_u32_f32_e32 v2, v2
	v_readfirstlane_b32 s34, v2
	s_cbranch_scc1 .LBB9_2
; %bb.1:
	s_abs_i32 s28, s28
	v_cvt_f32_u32_e32 v2, s28
	s_sub_i32 s37, 0, s28
	s_abs_i32 s36, s30
	s_ashr_i32 s35, s30, 31
	v_rcp_iflag_f32_e32 v2, v2
	s_load_dwordx2 s[26:27], s[4:5], 0xc8
	v_mul_f32_e32 v2, 0x4f7ffffe, v2
	v_cvt_u32_f32_e32 v2, v2
	v_readfirstlane_b32 s38, v2
	s_mul_i32 s37, s37, s38
	s_mul_hi_u32 s37, s38, s37
	s_add_i32 s38, s38, s37
	s_mul_hi_u32 s37, s36, s38
	s_mul_i32 s37, s37, s28
	s_sub_i32 s36, s36, s37
	s_sub_i32 s37, s36, s28
	s_cmp_ge_u32 s36, s28
	s_cselect_b32 s36, s37, s36
	s_sub_i32 s37, s36, s28
	s_cmp_ge_u32 s36, s28
	s_cselect_b32 s28, s37, s36
	s_xor_b32 s28, s28, s35
	s_sub_i32 s28, s28, s35
	s_ashr_i32 s35, s28, 31
	s_waitcnt lgkmcnt(0)
	s_mul_hi_u32 s36, s26, s28
	s_mul_i32 s35, s26, s35
	s_mul_i32 s27, s27, s28
	s_add_i32 s35, s36, s35
	s_add_i32 s35, s35, s27
	s_mul_i32 s26, s26, s28
	s_add_u32 s26, s14, s26
	s_addc_u32 s27, s15, s35
.LBB9_2:
	v_lshrrev_b32_e32 v2, 1, v1
	s_load_dwordx4 s[36:39], s[4:5], 0x70
	v_lshl_add_u32 v13, s6, 2, v2
	v_mul_hi_u32 v2, s0, v13
	v_lshlrev_b32_e32 v6, 2, v1
	v_and_b32_e32 v14, 4, v6
	s_waitcnt lgkmcnt(0)
	s_mul_i32 s0, s30, s38
	v_add_u32_e32 v2, v13, v2
	s_ashr_i32 s15, s0, 31
	v_lshrrev_b32_e32 v2, s1, v2
	s_mul_i32 s14, s25, s37
	s_add_u32 s0, s8, s0
	v_mul_lo_u32 v2, v2, s2
	s_addc_u32 s8, s9, s15
	s_ashr_i32 s9, s14, 31
	s_add_u32 s14, s0, s14
	s_addc_u32 s15, s8, s9
	s_ashr_i32 s1, s37, 31
	s_mov_b32 s0, s37
	s_ashr_i32 s37, s36, 31
	v_sub_u32_e32 v5, v13, v2
	s_lshr_b64 s[8:9], s[36:37], 2
	v_mad_u64_u32 v[2:3], s[8:9], s8, v5, 0
	s_lshr_b32 s8, s37, 2
	v_lshlrev_b32_e32 v8, 4, v0
	v_mad_u64_u32 v[3:4], s[8:9], s8, v5, v[3:4]
	s_lshr_b64 s[8:9], s[0:1], 2
	v_mov_b32_e32 v4, s15
	v_lshlrev_b64 v[2:3], 2, v[2:3]
	s_movk_i32 s0, 0x600
	v_add_co_u32_e32 v7, vcc, s14, v2
	v_addc_co_u32_e32 v4, vcc, v4, v3, vcc
	v_mad_u64_u32 v[2:3], s[14:15], s8, v14, 0
	v_add_co_u32_e32 v7, vcc, v7, v8
	v_addc_co_u32_e32 v9, vcc, 0, v4, vcc
	v_mul_i32_i24_e32 v4, s1, v14
	v_or_b32_e32 v3, v3, v4
	v_lshlrev_b64 v[2:3], 2, v[2:3]
	s_load_dword s14, s[4:5], 0x40
	v_add_co_u32_e32 v2, vcc, v7, v2
	v_addc_co_u32_e32 v3, vcc, v9, v3, vcc
	global_load_dwordx4 v[15:18], v[2:3], off
	v_lshlrev_b32_e32 v4, 3, v0
	v_mul_u32_u24_e32 v8, 0x600, v1
	v_mad_u32_u24 v12, v1, s0, v4
	v_cmp_gt_u32_e32 vcc, 16, v0
	s_waitcnt vmcnt(0) lgkmcnt(0)
	v_fma_mixlo_f16 v10, s14, v15, 0
	v_fma_mixlo_f16 v11, s14, v16, 0
	;; [unrolled: 1-line block ×4, first 2 shown]
	v_lshlrev_b32_e32 v11, 16, v11
	v_and_b32_e32 v10, 0xffff, v10
	v_lshlrev_b32_e32 v16, 16, v16
	v_and_b32_e32 v15, 0xffff, v15
	v_or_b32_e32 v10, v11, v10
	v_or3_b32 v11, v16, v15, 0
	v_or3_b32 v10, 0, 0, v10
	ds_write_b64 v12, v[10:11]
	s_and_saveexec_b64 s[0:1], vcc
	s_cbranch_execz .LBB9_4
; %bb.3:
	global_load_dwordx4 v[15:18], v[2:3], off offset:512
	s_waitcnt vmcnt(0)
	v_fma_mixlo_f16 v2, s14, v15, 0
	v_fma_mixlo_f16 v3, s14, v16, 0
	;; [unrolled: 1-line block ×4, first 2 shown]
	v_lshlrev_b32_e32 v3, 16, v3
	v_and_b32_e32 v2, 0xffff, v2
	v_lshlrev_b32_e32 v11, 16, v11
	v_and_b32_e32 v10, 0xffff, v10
	v_or_b32_e32 v2, v3, v2
	v_or3_b32 v3, v11, v10, 0
	v_or3_b32 v2, 0, 0, v2
	v_add_u32_e32 v10, v4, v8
	ds_write_b64 v10, v[2:3] offset:256
.LBB9_4:
	s_or_b64 exec, exec, s[0:1]
	v_or_b32_e32 v12, 1, v6
	v_and_b32_e32 v10, 5, v12
	v_mad_u64_u32 v[2:3], s[0:1], s8, v10, 0
	v_mul_u32_u24_e32 v19, 0x180, v12
	v_mad_u64_u32 v[10:11], s[0:1], s9, v10, v[3:4]
	v_mov_b32_e32 v3, v10
	v_lshlrev_b64 v[2:3], 2, v[2:3]
	v_add_co_u32_e64 v2, s[0:1], v7, v2
	v_addc_co_u32_e64 v3, s[0:1], v9, v3, s[0:1]
	global_load_dwordx4 v[15:18], v[2:3], off
	s_movk_i32 s0, 0x180
	v_mad_u32_u24 v12, v12, s0, v4
	s_waitcnt vmcnt(0)
	v_fma_mixlo_f16 v10, s14, v15, 0
	v_fma_mixlo_f16 v11, s14, v16, 0
	;; [unrolled: 1-line block ×4, first 2 shown]
	v_lshlrev_b32_e32 v11, 16, v11
	v_and_b32_e32 v10, 0xffff, v10
	v_lshlrev_b32_e32 v16, 16, v16
	v_and_b32_e32 v15, 0xffff, v15
	v_or_b32_e32 v10, v11, v10
	v_or3_b32 v11, v16, v15, 0
	v_or3_b32 v10, 0, 0, v10
	ds_write_b64 v12, v[10:11]
	v_add_u32_e32 v10, v4, v19
	s_and_saveexec_b64 s[0:1], vcc
	s_cbranch_execz .LBB9_6
; %bb.5:
	global_load_dwordx4 v[15:18], v[2:3], off offset:512
	s_waitcnt vmcnt(0)
	v_fma_mixlo_f16 v2, s14, v15, 0
	v_fma_mixlo_f16 v3, s14, v16, 0
	;; [unrolled: 1-line block ×4, first 2 shown]
	v_lshlrev_b32_e32 v3, 16, v3
	v_and_b32_e32 v2, 0xffff, v2
	v_lshlrev_b32_e32 v12, 16, v12
	v_and_b32_e32 v11, 0xffff, v11
	v_or_b32_e32 v2, v3, v2
	v_or3_b32 v3, v12, v11, 0
	v_or3_b32 v2, 0, 0, v2
	ds_write_b64 v10, v[2:3] offset:256
.LBB9_6:
	s_or_b64 exec, exec, s[0:1]
	v_or_b32_e32 v2, 2, v6
	v_and_b32_e32 v11, 6, v2
	v_mad_u64_u32 v[2:3], s[0:1], s8, v11, 0
	v_mad_u64_u32 v[11:12], s[0:1], s9, v11, v[3:4]
	v_mov_b32_e32 v3, v11
	v_lshlrev_b64 v[2:3], 2, v[2:3]
	v_add_co_u32_e64 v2, s[0:1], v7, v2
	v_addc_co_u32_e64 v3, s[0:1], v9, v3, s[0:1]
	global_load_dwordx4 v[15:18], v[2:3], off
	s_waitcnt vmcnt(0)
	v_fma_mixlo_f16 v11, s14, v15, 0
	v_fma_mixlo_f16 v12, s14, v16, 0
	;; [unrolled: 1-line block ×4, first 2 shown]
	v_lshlrev_b32_e32 v12, 16, v12
	v_and_b32_e32 v11, 0xffff, v11
	v_lshlrev_b32_e32 v16, 16, v16
	v_and_b32_e32 v15, 0xffff, v15
	v_or_b32_e32 v11, v12, v11
	v_or3_b32 v12, v16, v15, 0
	v_or3_b32 v11, 0, 0, v11
	ds_write_b64 v10, v[11:12] offset:384
	s_and_saveexec_b64 s[0:1], vcc
	s_cbranch_execz .LBB9_8
; %bb.7:
	global_load_dwordx4 v[15:18], v[2:3], off offset:512
	s_waitcnt vmcnt(0)
	v_fma_mixlo_f16 v2, s14, v15, 0
	v_fma_mixlo_f16 v3, s14, v16, 0
	;; [unrolled: 1-line block ×4, first 2 shown]
	v_lshlrev_b32_e32 v3, 16, v3
	v_and_b32_e32 v2, 0xffff, v2
	v_lshlrev_b32_e32 v12, 16, v12
	v_and_b32_e32 v11, 0xffff, v11
	v_or_b32_e32 v2, v3, v2
	v_or3_b32 v3, v12, v11, 0
	v_or3_b32 v2, 0, 0, v2
	ds_write_b64 v10, v[2:3] offset:640
.LBB9_8:
	s_or_b64 exec, exec, s[0:1]
	v_or_b32_e32 v2, 3, v6
	v_and_b32_e32 v11, 7, v2
	v_mad_u64_u32 v[2:3], s[0:1], s8, v11, 0
	v_mad_u64_u32 v[11:12], s[0:1], s9, v11, v[3:4]
	v_mov_b32_e32 v3, v11
	v_lshlrev_b64 v[2:3], 2, v[2:3]
	v_add_co_u32_e64 v2, s[0:1], v7, v2
	v_addc_co_u32_e64 v3, s[0:1], v9, v3, s[0:1]
	global_load_dwordx4 v[15:18], v[2:3], off
	s_waitcnt vmcnt(0)
	v_fma_mixlo_f16 v7, s14, v15, 0
	v_fma_mixlo_f16 v9, s14, v16, 0
	;; [unrolled: 1-line block ×4, first 2 shown]
	v_lshlrev_b32_e32 v9, 16, v9
	v_and_b32_e32 v7, 0xffff, v7
	v_lshlrev_b32_e32 v12, 16, v12
	v_and_b32_e32 v11, 0xffff, v11
	v_or_b32_e32 v7, v9, v7
	v_or3_b32 v12, v12, v11, 0
	v_or3_b32 v11, 0, 0, v7
	ds_write_b64 v10, v[11:12] offset:768
	s_and_saveexec_b64 s[0:1], vcc
	s_cbranch_execz .LBB9_10
; %bb.9:
	global_load_dwordx4 v[15:18], v[2:3], off offset:512
	s_waitcnt vmcnt(0)
	v_fma_mixlo_f16 v2, s14, v15, 0
	v_fma_mixlo_f16 v3, s14, v16, 0
	;; [unrolled: 1-line block ×4, first 2 shown]
	v_lshlrev_b32_e32 v3, 16, v3
	v_and_b32_e32 v2, 0xffff, v2
	v_lshlrev_b32_e32 v9, 16, v9
	v_and_b32_e32 v7, 0xffff, v7
	v_or_b32_e32 v2, v3, v2
	v_or3_b32 v3, v9, v7, 0
	v_or3_b32 v2, 0, 0, v2
	ds_write_b64 v10, v[2:3] offset:1024
.LBB9_10:
	s_or_b64 exec, exec, s[0:1]
	s_cmp_eq_u64 s[18:19], 0
	s_waitcnt lgkmcnt(0)
	s_barrier
	s_cbranch_scc1 .LBB9_12
; %bb.11:
	s_load_dword s0, s[4:5], 0xd0
	s_mov_b32 s1, 0
	s_waitcnt lgkmcnt(0)
	s_mul_i32 s0, s0, s30
	s_add_i32 s0, s0, s6
	s_lshl_b64 s[0:1], s[0:1], 2
	s_add_u32 s0, s18, s0
	s_addc_u32 s1, s19, s1
	s_load_dword s24, s[0:1], 0x0
.LBB9_12:
	s_lshl_b32 s6, s7, 5
	s_waitcnt lgkmcnt(0)
	s_cmp_lt_i32 s6, s24
	v_mbcnt_lo_u32_b32 v2, -1, 0
	s_cbranch_scc1 .LBB9_15
; %bb.13:
	v_mbcnt_hi_u32_b32 v9, -1, v2
	v_and_b32_e32 v3, 0x60, v9
	v_add_u32_e32 v10, 32, v3
	v_xor_b32_e32 v18, 16, v9
	v_xor_b32_e32 v17, 8, v9
	;; [unrolled: 1-line block ×5, first 2 shown]
	v_lshlrev_b32_e32 v15, 2, v0
	s_cbranch_execz .LBB9_16
; %bb.14:
	v_mov_b32_e32 v35, 0
	v_mov_b32_e32 v19, 0
	;; [unrolled: 1-line block ×16, first 2 shown]
	s_branch .LBB9_18
.LBB9_15:
                                        ; implicit-def: $vgpr9
                                        ; implicit-def: $vgpr10
                                        ; implicit-def: $vgpr18
                                        ; implicit-def: $vgpr17
                                        ; implicit-def: $vgpr16
                                        ; implicit-def: $vgpr11
                                        ; implicit-def: $vgpr12
	v_lshlrev_b32_e32 v15, 2, v0
.LBB9_16:
	s_sub_i32 s0, 0, s31
	s_mul_i32 s0, s0, s34
	s_mul_hi_u32 s0, s34, s0
	s_add_i32 s34, s34, s0
	s_load_dwordx2 s[0:1], s[4:5], 0x8c
	s_load_dwordx4 s[36:39], s[4:5], 0x98
	s_abs_i32 s18, s25
	s_mul_hi_u32 s19, s18, s34
	s_ashr_i32 s28, s25, 31
	s_waitcnt lgkmcnt(0)
	s_ashr_i32 s9, s0, 2
	s_ashr_i32 s0, s30, 31
	s_mul_hi_u32 s34, s36, s30
	s_mul_i32 s35, s36, s0
	s_add_i32 s34, s34, s35
	s_mul_i32 s35, s37, s30
	s_ashr_i32 s33, s33, 31
	s_ashr_i32 s8, s38, 2
	;; [unrolled: 1-line block ×3, first 2 shown]
	s_add_i32 s34, s34, s35
	s_mul_i32 s35, s36, s30
	s_add_u32 s10, s10, s35
	s_addc_u32 s11, s11, s34
	s_xor_b32 s28, s28, s33
	s_mul_i32 s33, s19, s31
	s_sub_i32 s18, s18, s33
	s_add_i32 s33, s19, 1
	s_sub_i32 s34, s18, s31
	s_cmp_ge_u32 s18, s31
	s_cselect_b32 s19, s33, s19
	s_cselect_b32 s18, s34, s18
	s_add_i32 s33, s19, 1
	s_cmp_ge_u32 s18, s31
	s_cselect_b32 s18, s33, s19
	s_load_dwordx2 s[14:15], s[4:5], 0xa8
	s_xor_b32 s18, s18, s28
	s_sub_i32 s18, s18, s28
	v_lshrrev_b32_e32 v3, 3, v0
	s_mul_i32 s1, s18, s1
	v_add_u32_e32 v3, v3, v6
	s_ashr_i32 s19, s1, 31
	v_mul_lo_u32 v6, s9, v3
	s_add_u32 s1, s10, s1
	s_addc_u32 s10, s11, s19
	s_waitcnt lgkmcnt(0)
	s_mul_hi_u32 s11, s14, s30
	s_mul_i32 s0, s14, s0
	s_add_i32 s0, s11, s0
	s_mul_i32 s11, s15, s30
	v_and_b32_e32 v7, 28, v15
	s_add_i32 s0, s0, s11
	s_mul_i32 s11, s14, s30
	v_mul_u32_u24_e32 v9, 0x90, v3
	v_lshlrev_b32_e32 v3, 2, v7
	v_ashrrev_i32_e32 v7, 31, v6
	s_add_u32 s11, s12, s11
	v_lshlrev_b64 v[6:7], 2, v[6:7]
	s_addc_u32 s0, s13, s0
	s_mul_i32 s18, s18, s39
	s_movk_i32 s13, 0x3000
	s_ashr_i32 s12, s18, 31
	v_add3_u32 v20, v9, v3, s13
	v_mov_b32_e32 v9, s10
	v_add_co_u32_e32 v6, vcc, s1, v6
	s_add_u32 s11, s11, s18
	v_addc_co_u32_e32 v7, vcc, v9, v7, vcc
	s_addc_u32 s12, s0, s12
	s_movk_i32 s0, 0x90
	v_add_co_u32_e32 v21, vcc, v6, v3
	v_mov_b32_e32 v3, 0x3000
	v_mad_u32_u24 v23, v0, s0, v3
	v_mov_b32_e32 v3, 0x4200
	v_lshl_add_u32 v24, v1, 8, v3
	v_lshrrev_b32_e32 v3, 4, v0
	v_mad_u64_u32 v[5:6], s[0:1], v5, s29, v[0:1]
	v_lshl_add_u32 v1, v1, 1, v3
	v_mul_lo_u32 v6, s8, v1
	v_addc_co_u32_e32 v22, vcc, 0, v7, vcc
	v_and_b32_e32 v3, 60, v15
	v_ashrrev_i32_e32 v7, 31, v6
	v_lshlrev_b32_e32 v3, 2, v3
	v_lshlrev_b64 v[6:7], 2, v[6:7]
	v_lshl_or_b32 v1, v1, 8, v3
	v_add_u32_e32 v25, 0x3000, v1
	v_mov_b32_e32 v1, s12
	v_add_co_u32_e32 v6, vcc, s11, v6
	v_addc_co_u32_e32 v1, vcc, v1, v7, vcc
	v_mbcnt_hi_u32_b32 v9, -1, v2
	v_add_co_u32_e32 v26, vcc, v6, v3
	s_add_u32 s0, s4, 0xd0
	v_and_b32_e32 v2, 0x60, v9
	v_mov_b32_e32 v41, 0
	v_addc_co_u32_e32 v27, vcc, 0, v1, vcc
	s_addc_u32 s1, s5, 0
	v_mov_b32_e32 v1, 0xfeffffff
	v_mov_b32_e32 v36, 0
	;; [unrolled: 1-line block ×3, first 2 shown]
	v_add_u32_e32 v10, 32, v2
	v_xor_b32_e32 v18, 16, v9
	v_xor_b32_e32 v17, 8, v9
	;; [unrolled: 1-line block ×5, first 2 shown]
	s_mov_b32 s10, 0x3fb8aa3b
	s_mov_b32 s11, 0xc2ce8ed0
	;; [unrolled: 1-line block ×3, first 2 shown]
	v_mov_b32_e32 v29, 0x7f800000
	s_mov_b32 s13, 0x10001
	v_add_u32_e32 v30, v24, v4
	v_add_u32_e32 v31, 0x3000, v4
	;; [unrolled: 1-line block ×3, first 2 shown]
	v_mov_b32_e32 v37, 0
	v_mov_b32_e32 v38, 0
	v_mov_b32_e32 v33, 0
	v_mov_b32_e32 v39, 0
	v_mov_b32_e32 v34, 0
	v_mov_b32_e32 v40, 0
	v_mov_b32_e32 v35, 0
	v_mov_b32_e32 v2, 0xfeffffff
	v_mov_b32_e32 v3, 0xfeffffff
	v_mov_b32_e32 v4, 0xfeffffff
	v_mov_b32_e32 v42, 0
	v_mov_b32_e32 v43, 0
	v_mov_b32_e32 v19, 0
.LBB9_17:                               ; =>This Inner Loop Header: Depth=1
	s_mul_hi_i32 s15, s6, s9
	s_mul_i32 s14, s6, s9
	s_lshl_b64 s[14:15], s[14:15], 2
	v_mov_b32_e32 v44, v42
	v_mov_b32_e32 v45, v41
	;; [unrolled: 1-line block ×4, first 2 shown]
	v_add_co_u32_e32 v1, vcc, s14, v21
	v_mov_b32_e32 v2, s15
	v_addc_co_u32_e32 v2, vcc, v22, v2, vcc
	global_load_dwordx4 v[46:49], v[1:2], off
	v_mov_b32_e32 v7, v43
	v_mov_b32_e32 v43, v3
	;; [unrolled: 1-line block ×5, first 2 shown]
	s_mul_hi_i32 s15, s6, s8
	s_mul_i32 s14, s6, s8
	s_lshl_b64 s[14:15], s[14:15], 2
	s_waitcnt vmcnt(0)
	ds_write_b128 v20, v[46:49]
	s_waitcnt lgkmcnt(0)
	s_barrier
	ds_read_b128 v[48:51], v23
	ds_read_b128 v[52:55], v8
	ds_read_b128 v[56:59], v8 offset:384
	ds_read_b128 v[60:63], v8 offset:768
	;; [unrolled: 1-line block ×3, first 2 shown]
	v_mov_b32_e32 v47, 0
	s_waitcnt lgkmcnt(3)
	;;#ASMSTART
	v_dot2_f32_f16 v47, v48, v52, v47
	;;#ASMEND
	;;#ASMSTART
	v_dot2_f32_f16 v47, v49, v53, v47
	;;#ASMEND
	;; [unrolled: 3-line block ×3, first 2 shown]
	v_mov_b32_e32 v46, 0
	;;#ASMSTART
	v_dot2_f32_f16 v47, v51, v55, v47
	;;#ASMEND
	s_waitcnt lgkmcnt(2)
	;;#ASMSTART
	v_dot2_f32_f16 v46, v48, v56, v46
	;;#ASMEND
	;;#ASMSTART
	v_dot2_f32_f16 v46, v49, v57, v46
	;;#ASMEND
	;;#ASMSTART
	v_dot2_f32_f16 v46, v50, v58, v46
	;;#ASMEND
	;;#ASMSTART
	v_dot2_f32_f16 v46, v51, v59, v46
	;;#ASMEND
	s_waitcnt lgkmcnt(1)
	;;#ASMSTART
	v_dot2_f32_f16 v3, v48, v60, v3
	;;#ASMEND
	;;#ASMSTART
	v_dot2_f32_f16 v3, v49, v61, v3
	;;#ASMEND
	;;#ASMSTART
	v_dot2_f32_f16 v3, v50, v62, v3
	;;#ASMEND
	;;#ASMSTART
	v_dot2_f32_f16 v3, v51, v63, v3
	;;#ASMEND
	s_waitcnt lgkmcnt(0)
	;;#ASMSTART
	v_dot2_f32_f16 v4, v48, v64, v4
	;;#ASMEND
	;;#ASMSTART
	v_dot2_f32_f16 v4, v49, v65, v4
	;;#ASMEND
	;;#ASMSTART
	v_dot2_f32_f16 v4, v50, v66, v4
	;;#ASMEND
	;;#ASMSTART
	v_dot2_f32_f16 v4, v51, v67, v4
	;;#ASMEND
	ds_read_b128 v[48:51], v23 offset:16
	ds_read_b128 v[52:55], v8 offset:16
	ds_read_b128 v[56:59], v8 offset:400
	ds_read_b128 v[60:63], v8 offset:784
	ds_read_b128 v[64:67], v8 offset:1168
	s_waitcnt lgkmcnt(3)
	;;#ASMSTART
	v_dot2_f32_f16 v47, v48, v52, v47
	;;#ASMEND
	;;#ASMSTART
	v_dot2_f32_f16 v47, v49, v53, v47
	;;#ASMEND
	;;#ASMSTART
	v_dot2_f32_f16 v47, v50, v54, v47
	;;#ASMEND
	;;#ASMSTART
	v_dot2_f32_f16 v47, v51, v55, v47
	;;#ASMEND
	s_waitcnt lgkmcnt(2)
	;;#ASMSTART
	v_dot2_f32_f16 v46, v48, v56, v46
	;;#ASMEND
	;;#ASMSTART
	v_dot2_f32_f16 v46, v49, v57, v46
	;;#ASMEND
	;;#ASMSTART
	v_dot2_f32_f16 v46, v50, v58, v46
	;;#ASMEND
	;;#ASMSTART
	v_dot2_f32_f16 v46, v51, v59, v46
	;;#ASMEND
	s_waitcnt lgkmcnt(1)
	;;#ASMSTART
	v_dot2_f32_f16 v3, v48, v60, v3
	;;#ASMEND
	;;#ASMSTART
	v_dot2_f32_f16 v3, v49, v61, v3
	;;#ASMEND
	;;#ASMSTART
	v_dot2_f32_f16 v3, v50, v62, v3
	;;#ASMEND
	;;#ASMSTART
	v_dot2_f32_f16 v3, v51, v63, v3
	;;#ASMEND
	s_waitcnt lgkmcnt(0)
	;;#ASMSTART
	v_dot2_f32_f16 v4, v48, v64, v4
	;;#ASMEND
	;;#ASMSTART
	v_dot2_f32_f16 v4, v49, v65, v4
	;;#ASMEND
	;;#ASMSTART
	v_dot2_f32_f16 v4, v50, v66, v4
	;;#ASMEND
	;;#ASMSTART
	v_dot2_f32_f16 v4, v51, v67, v4
	;;#ASMEND
	ds_read_b128 v[48:51], v23 offset:32
	ds_read_b128 v[52:55], v8 offset:32
	ds_read_b128 v[56:59], v8 offset:416
	ds_read_b128 v[60:63], v8 offset:800
	ds_read_b128 v[64:67], v8 offset:1184
	s_waitcnt lgkmcnt(3)
	;;#ASMSTART
	v_dot2_f32_f16 v47, v48, v52, v47
	;;#ASMEND
	;;#ASMSTART
	v_dot2_f32_f16 v47, v49, v53, v47
	;;#ASMEND
	;;#ASMSTART
	v_dot2_f32_f16 v47, v50, v54, v47
	;;#ASMEND
	;;#ASMSTART
	v_dot2_f32_f16 v47, v51, v55, v47
	;;#ASMEND
	s_waitcnt lgkmcnt(2)
	;;#ASMSTART
	v_dot2_f32_f16 v46, v48, v56, v46
	;;#ASMEND
	;;#ASMSTART
	v_dot2_f32_f16 v46, v49, v57, v46
	;;#ASMEND
	;;#ASMSTART
	v_dot2_f32_f16 v46, v50, v58, v46
	;;#ASMEND
	;;#ASMSTART
	v_dot2_f32_f16 v46, v51, v59, v46
	;;#ASMEND
	s_waitcnt lgkmcnt(1)
	;;#ASMSTART
	v_dot2_f32_f16 v3, v48, v60, v3
	;;#ASMEND
	;;#ASMSTART
	v_dot2_f32_f16 v3, v49, v61, v3
	;;#ASMEND
	;;#ASMSTART
	v_dot2_f32_f16 v3, v50, v62, v3
	;;#ASMEND
	;;#ASMSTART
	v_dot2_f32_f16 v3, v51, v63, v3
	;;#ASMEND
	s_waitcnt lgkmcnt(0)
	;;#ASMSTART
	v_dot2_f32_f16 v4, v48, v64, v4
	;;#ASMEND
	;;#ASMSTART
	v_dot2_f32_f16 v4, v49, v65, v4
	;;#ASMEND
	;;#ASMSTART
	v_dot2_f32_f16 v4, v50, v66, v4
	;;#ASMEND
	;;#ASMSTART
	v_dot2_f32_f16 v4, v51, v67, v4
	;;#ASMEND
	ds_read_b128 v[48:51], v23 offset:48
	ds_read_b128 v[52:55], v8 offset:48
	ds_read_b128 v[56:59], v8 offset:432
	ds_read_b128 v[60:63], v8 offset:816
	ds_read_b128 v[64:67], v8 offset:1200
	s_waitcnt lgkmcnt(3)
	;;#ASMSTART
	v_dot2_f32_f16 v47, v48, v52, v47
	;;#ASMEND
	;;#ASMSTART
	v_dot2_f32_f16 v47, v49, v53, v47
	;;#ASMEND
	;;#ASMSTART
	v_dot2_f32_f16 v47, v50, v54, v47
	;;#ASMEND
	;;#ASMSTART
	v_dot2_f32_f16 v47, v51, v55, v47
	;;#ASMEND
	s_waitcnt lgkmcnt(2)
	;;#ASMSTART
	v_dot2_f32_f16 v46, v48, v56, v46
	;;#ASMEND
	;;#ASMSTART
	v_dot2_f32_f16 v46, v49, v57, v46
	;;#ASMEND
	;;#ASMSTART
	v_dot2_f32_f16 v46, v50, v58, v46
	;;#ASMEND
	;;#ASMSTART
	v_dot2_f32_f16 v46, v51, v59, v46
	;;#ASMEND
	s_waitcnt lgkmcnt(1)
	;;#ASMSTART
	v_dot2_f32_f16 v3, v48, v60, v3
	;;#ASMEND
	;;#ASMSTART
	v_dot2_f32_f16 v3, v49, v61, v3
	;;#ASMEND
	;;#ASMSTART
	v_dot2_f32_f16 v3, v50, v62, v3
	;;#ASMEND
	;;#ASMSTART
	v_dot2_f32_f16 v3, v51, v63, v3
	;;#ASMEND
	s_waitcnt lgkmcnt(0)
	;;#ASMSTART
	v_dot2_f32_f16 v4, v48, v64, v4
	;;#ASMEND
	;;#ASMSTART
	v_dot2_f32_f16 v4, v49, v65, v4
	;;#ASMEND
	;;#ASMSTART
	v_dot2_f32_f16 v4, v50, v66, v4
	;;#ASMEND
	;;#ASMSTART
	v_dot2_f32_f16 v4, v51, v67, v4
	;;#ASMEND
	ds_read_b128 v[48:51], v23 offset:64
	ds_read_b128 v[52:55], v8 offset:64
	ds_read_b128 v[56:59], v8 offset:448
	ds_read_b128 v[60:63], v8 offset:832
	ds_read_b128 v[64:67], v8 offset:1216
	s_waitcnt lgkmcnt(3)
	;;#ASMSTART
	v_dot2_f32_f16 v47, v48, v52, v47
	;;#ASMEND
	;;#ASMSTART
	v_dot2_f32_f16 v47, v49, v53, v47
	;;#ASMEND
	;;#ASMSTART
	v_dot2_f32_f16 v47, v50, v54, v47
	;;#ASMEND
	;;#ASMSTART
	v_dot2_f32_f16 v47, v51, v55, v47
	;;#ASMEND
	s_waitcnt lgkmcnt(2)
	;;#ASMSTART
	v_dot2_f32_f16 v46, v48, v56, v46
	;;#ASMEND
	;;#ASMSTART
	v_dot2_f32_f16 v46, v49, v57, v46
	;;#ASMEND
	;;#ASMSTART
	v_dot2_f32_f16 v46, v50, v58, v46
	;;#ASMEND
	;;#ASMSTART
	v_dot2_f32_f16 v46, v51, v59, v46
	;;#ASMEND
	s_waitcnt lgkmcnt(1)
	;;#ASMSTART
	v_dot2_f32_f16 v3, v48, v60, v3
	;;#ASMEND
	;;#ASMSTART
	v_dot2_f32_f16 v3, v49, v61, v3
	;;#ASMEND
	;;#ASMSTART
	v_dot2_f32_f16 v3, v50, v62, v3
	;;#ASMEND
	;;#ASMSTART
	v_dot2_f32_f16 v3, v51, v63, v3
	;;#ASMEND
	s_waitcnt lgkmcnt(0)
	;;#ASMSTART
	v_dot2_f32_f16 v4, v48, v64, v4
	;;#ASMEND
	;;#ASMSTART
	v_dot2_f32_f16 v4, v49, v65, v4
	;;#ASMEND
	;;#ASMSTART
	v_dot2_f32_f16 v4, v50, v66, v4
	;;#ASMEND
	;;#ASMSTART
	v_dot2_f32_f16 v4, v51, v67, v4
	;;#ASMEND
	ds_read_b128 v[48:51], v23 offset:80
	ds_read_b128 v[52:55], v8 offset:80
	ds_read_b128 v[56:59], v8 offset:464
	ds_read_b128 v[60:63], v8 offset:848
	ds_read_b128 v[64:67], v8 offset:1232
	s_waitcnt lgkmcnt(3)
	;;#ASMSTART
	v_dot2_f32_f16 v47, v48, v52, v47
	;;#ASMEND
	;;#ASMSTART
	v_dot2_f32_f16 v47, v49, v53, v47
	;;#ASMEND
	;;#ASMSTART
	v_dot2_f32_f16 v47, v50, v54, v47
	;;#ASMEND
	;;#ASMSTART
	v_dot2_f32_f16 v47, v51, v55, v47
	;;#ASMEND
	s_waitcnt lgkmcnt(2)
	;;#ASMSTART
	v_dot2_f32_f16 v46, v48, v56, v46
	;;#ASMEND
	;;#ASMSTART
	v_dot2_f32_f16 v46, v49, v57, v46
	;;#ASMEND
	;;#ASMSTART
	v_dot2_f32_f16 v46, v50, v58, v46
	;;#ASMEND
	;;#ASMSTART
	v_dot2_f32_f16 v46, v51, v59, v46
	;;#ASMEND
	s_waitcnt lgkmcnt(1)
	;;#ASMSTART
	v_dot2_f32_f16 v3, v48, v60, v3
	;;#ASMEND
	;;#ASMSTART
	v_dot2_f32_f16 v3, v49, v61, v3
	;;#ASMEND
	;;#ASMSTART
	v_dot2_f32_f16 v3, v50, v62, v3
	;;#ASMEND
	;;#ASMSTART
	v_dot2_f32_f16 v3, v51, v63, v3
	;;#ASMEND
	s_waitcnt lgkmcnt(0)
	;;#ASMSTART
	v_dot2_f32_f16 v4, v48, v64, v4
	;;#ASMEND
	;;#ASMSTART
	v_dot2_f32_f16 v4, v49, v65, v4
	;;#ASMEND
	;;#ASMSTART
	v_dot2_f32_f16 v4, v50, v66, v4
	;;#ASMEND
	;;#ASMSTART
	v_dot2_f32_f16 v4, v51, v67, v4
	;;#ASMEND
	ds_read_b128 v[48:51], v23 offset:96
	ds_read_b128 v[52:55], v8 offset:96
	ds_read_b128 v[56:59], v8 offset:480
	ds_read_b128 v[60:63], v8 offset:864
	ds_read_b128 v[64:67], v8 offset:1248
	s_waitcnt lgkmcnt(3)
	;;#ASMSTART
	v_dot2_f32_f16 v47, v48, v52, v47
	;;#ASMEND
	;;#ASMSTART
	v_dot2_f32_f16 v47, v49, v53, v47
	;;#ASMEND
	;;#ASMSTART
	v_dot2_f32_f16 v47, v50, v54, v47
	;;#ASMEND
	;;#ASMSTART
	v_dot2_f32_f16 v47, v51, v55, v47
	;;#ASMEND
	s_waitcnt lgkmcnt(2)
	;;#ASMSTART
	v_dot2_f32_f16 v46, v48, v56, v46
	;;#ASMEND
	;;#ASMSTART
	v_dot2_f32_f16 v46, v49, v57, v46
	;;#ASMEND
	;;#ASMSTART
	v_dot2_f32_f16 v46, v50, v58, v46
	;;#ASMEND
	;;#ASMSTART
	v_dot2_f32_f16 v46, v51, v59, v46
	;;#ASMEND
	s_waitcnt lgkmcnt(1)
	;;#ASMSTART
	v_dot2_f32_f16 v3, v48, v60, v3
	;;#ASMEND
	;;#ASMSTART
	v_dot2_f32_f16 v3, v49, v61, v3
	;;#ASMEND
	;;#ASMSTART
	v_dot2_f32_f16 v3, v50, v62, v3
	;;#ASMEND
	;;#ASMSTART
	v_dot2_f32_f16 v3, v51, v63, v3
	;;#ASMEND
	s_waitcnt lgkmcnt(0)
	;;#ASMSTART
	v_dot2_f32_f16 v4, v48, v64, v4
	;;#ASMEND
	;;#ASMSTART
	v_dot2_f32_f16 v4, v49, v65, v4
	;;#ASMEND
	;;#ASMSTART
	v_dot2_f32_f16 v4, v50, v66, v4
	;;#ASMEND
	;;#ASMSTART
	v_dot2_f32_f16 v4, v51, v67, v4
	;;#ASMEND
	ds_read_b128 v[48:51], v23 offset:112
	ds_read_b128 v[52:55], v8 offset:112
	ds_read_b128 v[56:59], v8 offset:496
	ds_read_b128 v[60:63], v8 offset:880
	ds_read_b128 v[64:67], v8 offset:1264
	s_waitcnt lgkmcnt(3)
	;;#ASMSTART
	v_dot2_f32_f16 v47, v48, v52, v47
	;;#ASMEND
	;;#ASMSTART
	v_dot2_f32_f16 v47, v49, v53, v47
	;;#ASMEND
	;;#ASMSTART
	v_dot2_f32_f16 v47, v50, v54, v47
	;;#ASMEND
	;;#ASMSTART
	v_dot2_f32_f16 v47, v51, v55, v47
	;;#ASMEND
	s_waitcnt lgkmcnt(2)
	;;#ASMSTART
	v_dot2_f32_f16 v46, v48, v56, v46
	;;#ASMEND
	;;#ASMSTART
	v_dot2_f32_f16 v46, v49, v57, v46
	;;#ASMEND
	;;#ASMSTART
	v_dot2_f32_f16 v46, v50, v58, v46
	;;#ASMEND
	;;#ASMSTART
	v_dot2_f32_f16 v46, v51, v59, v46
	;;#ASMEND
	s_waitcnt lgkmcnt(1)
	;;#ASMSTART
	v_dot2_f32_f16 v3, v48, v60, v3
	;;#ASMEND
	;;#ASMSTART
	v_dot2_f32_f16 v3, v49, v61, v3
	;;#ASMEND
	;;#ASMSTART
	v_dot2_f32_f16 v3, v50, v62, v3
	;;#ASMEND
	;; [unrolled: 13-line block ×3, first 2 shown]
	;;#ASMSTART
	v_dot2_f32_f16 v4, v51, v67, v4
	;;#ASMEND
	s_barrier
	global_load_dwordx4 v[48:51], v[1:2], off offset:128
	s_waitcnt vmcnt(0)
	ds_write_b128 v20, v[48:51]
	s_waitcnt lgkmcnt(0)
	s_barrier
	ds_read_b128 v[48:51], v23
	ds_read_b128 v[52:55], v8 offset:128
	ds_read_b128 v[56:59], v8 offset:512
	ds_read_b128 v[60:63], v8 offset:896
	ds_read_b128 v[64:67], v8 offset:1280
	s_waitcnt lgkmcnt(3)
	;;#ASMSTART
	v_dot2_f32_f16 v47, v48, v52, v47
	;;#ASMEND
	;;#ASMSTART
	v_dot2_f32_f16 v47, v49, v53, v47
	;;#ASMEND
	;;#ASMSTART
	v_dot2_f32_f16 v47, v50, v54, v47
	;;#ASMEND
	;;#ASMSTART
	v_dot2_f32_f16 v47, v51, v55, v47
	;;#ASMEND
	s_waitcnt lgkmcnt(2)
	;;#ASMSTART
	v_dot2_f32_f16 v46, v48, v56, v46
	;;#ASMEND
	;;#ASMSTART
	v_dot2_f32_f16 v46, v49, v57, v46
	;;#ASMEND
	;;#ASMSTART
	v_dot2_f32_f16 v46, v50, v58, v46
	;;#ASMEND
	;;#ASMSTART
	v_dot2_f32_f16 v46, v51, v59, v46
	;;#ASMEND
	s_waitcnt lgkmcnt(1)
	;;#ASMSTART
	v_dot2_f32_f16 v3, v48, v60, v3
	;;#ASMEND
	;;#ASMSTART
	v_dot2_f32_f16 v3, v49, v61, v3
	;;#ASMEND
	;;#ASMSTART
	v_dot2_f32_f16 v3, v50, v62, v3
	;;#ASMEND
	;;#ASMSTART
	v_dot2_f32_f16 v3, v51, v63, v3
	;;#ASMEND
	s_waitcnt lgkmcnt(0)
	;;#ASMSTART
	v_dot2_f32_f16 v4, v48, v64, v4
	;;#ASMEND
	;;#ASMSTART
	v_dot2_f32_f16 v4, v49, v65, v4
	;;#ASMEND
	;;#ASMSTART
	v_dot2_f32_f16 v4, v50, v66, v4
	;;#ASMEND
	;;#ASMSTART
	v_dot2_f32_f16 v4, v51, v67, v4
	;;#ASMEND
	ds_read_b128 v[48:51], v23 offset:16
	ds_read_b128 v[52:55], v8 offset:144
	ds_read_b128 v[56:59], v8 offset:528
	ds_read_b128 v[60:63], v8 offset:912
	ds_read_b128 v[64:67], v8 offset:1296
	s_waitcnt lgkmcnt(3)
	;;#ASMSTART
	v_dot2_f32_f16 v47, v48, v52, v47
	;;#ASMEND
	;;#ASMSTART
	v_dot2_f32_f16 v47, v49, v53, v47
	;;#ASMEND
	;;#ASMSTART
	v_dot2_f32_f16 v47, v50, v54, v47
	;;#ASMEND
	;;#ASMSTART
	v_dot2_f32_f16 v47, v51, v55, v47
	;;#ASMEND
	s_waitcnt lgkmcnt(2)
	;;#ASMSTART
	v_dot2_f32_f16 v46, v48, v56, v46
	;;#ASMEND
	;;#ASMSTART
	v_dot2_f32_f16 v46, v49, v57, v46
	;;#ASMEND
	;;#ASMSTART
	v_dot2_f32_f16 v46, v50, v58, v46
	;;#ASMEND
	;;#ASMSTART
	v_dot2_f32_f16 v46, v51, v59, v46
	;;#ASMEND
	s_waitcnt lgkmcnt(1)
	;;#ASMSTART
	v_dot2_f32_f16 v3, v48, v60, v3
	;;#ASMEND
	;;#ASMSTART
	v_dot2_f32_f16 v3, v49, v61, v3
	;;#ASMEND
	;;#ASMSTART
	v_dot2_f32_f16 v3, v50, v62, v3
	;;#ASMEND
	;;#ASMSTART
	v_dot2_f32_f16 v3, v51, v63, v3
	;;#ASMEND
	s_waitcnt lgkmcnt(0)
	;;#ASMSTART
	v_dot2_f32_f16 v4, v48, v64, v4
	;;#ASMEND
	;;#ASMSTART
	v_dot2_f32_f16 v4, v49, v65, v4
	;;#ASMEND
	;;#ASMSTART
	v_dot2_f32_f16 v4, v50, v66, v4
	;;#ASMEND
	;;#ASMSTART
	v_dot2_f32_f16 v4, v51, v67, v4
	;;#ASMEND
	ds_read_b128 v[48:51], v23 offset:32
	;; [unrolled: 57-line block ×7, first 2 shown]
	ds_read_b128 v[52:55], v8 offset:240
	ds_read_b128 v[56:59], v8 offset:624
	;; [unrolled: 1-line block ×4, first 2 shown]
	s_waitcnt lgkmcnt(3)
	;;#ASMSTART
	v_dot2_f32_f16 v47, v48, v52, v47
	;;#ASMEND
	;;#ASMSTART
	v_dot2_f32_f16 v47, v49, v53, v47
	;;#ASMEND
	;;#ASMSTART
	v_dot2_f32_f16 v47, v50, v54, v47
	;;#ASMEND
	;;#ASMSTART
	v_dot2_f32_f16 v47, v51, v55, v47
	;;#ASMEND
	s_waitcnt lgkmcnt(2)
	;;#ASMSTART
	v_dot2_f32_f16 v46, v48, v56, v46
	;;#ASMEND
	;;#ASMSTART
	v_dot2_f32_f16 v46, v49, v57, v46
	;;#ASMEND
	;;#ASMSTART
	v_dot2_f32_f16 v46, v50, v58, v46
	;;#ASMEND
	;;#ASMSTART
	v_dot2_f32_f16 v46, v51, v59, v46
	;;#ASMEND
	;; [unrolled: 13-line block ×4, first 2 shown]
	s_barrier
	global_load_dwordx4 v[48:51], v[1:2], off offset:256
	v_add_u32_e32 v1, s6, v5
	v_ashrrev_i32_e32 v2, 31, v1
	v_lshlrev_b64 v[1:2], 1, v[1:2]
	v_add_co_u32_e32 v1, vcc, s26, v1
	v_addc_co_u32_e32 v2, vcc, v28, v2, vcc
	v_cmp_lt_i32_e32 vcc, v18, v10
	s_waitcnt vmcnt(0)
	ds_write_b128 v20, v[48:51]
	s_waitcnt lgkmcnt(0)
	s_barrier
	ds_read_b128 v[48:51], v23
	ds_read_b128 v[52:55], v8 offset:256
	ds_read_b128 v[56:59], v8 offset:640
	ds_read_b128 v[60:63], v8 offset:1024
	ds_read_b128 v[64:67], v8 offset:1408
	s_waitcnt lgkmcnt(3)
	;;#ASMSTART
	v_dot2_f32_f16 v47, v48, v52, v47
	;;#ASMEND
	;;#ASMSTART
	v_dot2_f32_f16 v47, v49, v53, v47
	;;#ASMEND
	;;#ASMSTART
	v_dot2_f32_f16 v47, v50, v54, v47
	;;#ASMEND
	;;#ASMSTART
	v_dot2_f32_f16 v47, v51, v55, v47
	;;#ASMEND
	s_waitcnt lgkmcnt(2)
	;;#ASMSTART
	v_dot2_f32_f16 v46, v48, v56, v46
	;;#ASMEND
	;;#ASMSTART
	v_dot2_f32_f16 v46, v49, v57, v46
	;;#ASMEND
	;;#ASMSTART
	v_dot2_f32_f16 v46, v50, v58, v46
	;;#ASMEND
	;;#ASMSTART
	v_dot2_f32_f16 v46, v51, v59, v46
	;;#ASMEND
	s_waitcnt lgkmcnt(1)
	;;#ASMSTART
	v_dot2_f32_f16 v3, v48, v60, v3
	;;#ASMEND
	;;#ASMSTART
	v_dot2_f32_f16 v3, v49, v61, v3
	;;#ASMEND
	;;#ASMSTART
	v_dot2_f32_f16 v3, v50, v62, v3
	;;#ASMEND
	;;#ASMSTART
	v_dot2_f32_f16 v3, v51, v63, v3
	;;#ASMEND
	s_waitcnt lgkmcnt(0)
	;;#ASMSTART
	v_dot2_f32_f16 v4, v48, v64, v4
	;;#ASMEND
	;;#ASMSTART
	v_dot2_f32_f16 v4, v49, v65, v4
	;;#ASMEND
	;;#ASMSTART
	v_dot2_f32_f16 v4, v50, v66, v4
	;;#ASMEND
	;;#ASMSTART
	v_dot2_f32_f16 v4, v51, v67, v4
	;;#ASMEND
	ds_read_b128 v[48:51], v23 offset:16
	ds_read_b128 v[52:55], v8 offset:272
	ds_read_b128 v[56:59], v8 offset:656
	ds_read_b128 v[60:63], v8 offset:1040
	ds_read_b128 v[64:67], v8 offset:1424
	s_waitcnt lgkmcnt(3)
	;;#ASMSTART
	v_dot2_f32_f16 v47, v48, v52, v47
	;;#ASMEND
	;;#ASMSTART
	v_dot2_f32_f16 v47, v49, v53, v47
	;;#ASMEND
	;;#ASMSTART
	v_dot2_f32_f16 v47, v50, v54, v47
	;;#ASMEND
	;;#ASMSTART
	v_dot2_f32_f16 v47, v51, v55, v47
	;;#ASMEND
	s_waitcnt lgkmcnt(2)
	;;#ASMSTART
	v_dot2_f32_f16 v46, v48, v56, v46
	;;#ASMEND
	;;#ASMSTART
	v_dot2_f32_f16 v46, v49, v57, v46
	;;#ASMEND
	;;#ASMSTART
	v_dot2_f32_f16 v46, v50, v58, v46
	;;#ASMEND
	;;#ASMSTART
	v_dot2_f32_f16 v46, v51, v59, v46
	;;#ASMEND
	s_waitcnt lgkmcnt(1)
	;;#ASMSTART
	v_dot2_f32_f16 v3, v48, v60, v3
	;;#ASMEND
	;;#ASMSTART
	v_dot2_f32_f16 v3, v49, v61, v3
	;;#ASMEND
	;;#ASMSTART
	v_dot2_f32_f16 v3, v50, v62, v3
	;;#ASMEND
	;;#ASMSTART
	v_dot2_f32_f16 v3, v51, v63, v3
	;;#ASMEND
	s_waitcnt lgkmcnt(0)
	;;#ASMSTART
	v_dot2_f32_f16 v4, v48, v64, v4
	;;#ASMEND
	;;#ASMSTART
	v_dot2_f32_f16 v4, v49, v65, v4
	;;#ASMEND
	;;#ASMSTART
	v_dot2_f32_f16 v4, v50, v66, v4
	;;#ASMEND
	;;#ASMSTART
	v_dot2_f32_f16 v4, v51, v67, v4
	;;#ASMEND
	ds_read_b128 v[48:51], v23 offset:32
	;; [unrolled: 57-line block ×7, first 2 shown]
	ds_read_b128 v[52:55], v8 offset:368
	ds_read_b128 v[56:59], v8 offset:752
	;; [unrolled: 1-line block ×4, first 2 shown]
	s_waitcnt lgkmcnt(3)
	;;#ASMSTART
	v_dot2_f32_f16 v47, v48, v52, v47
	;;#ASMEND
	;;#ASMSTART
	v_dot2_f32_f16 v47, v49, v53, v47
	;;#ASMEND
	;;#ASMSTART
	v_dot2_f32_f16 v47, v50, v54, v47
	;;#ASMEND
	;;#ASMSTART
	v_dot2_f32_f16 v47, v51, v55, v47
	;;#ASMEND
	s_waitcnt lgkmcnt(2)
	;;#ASMSTART
	v_dot2_f32_f16 v46, v48, v56, v46
	;;#ASMEND
	;;#ASMSTART
	v_dot2_f32_f16 v46, v49, v57, v46
	;;#ASMEND
	;;#ASMSTART
	v_dot2_f32_f16 v46, v50, v58, v46
	;;#ASMEND
	;;#ASMSTART
	v_dot2_f32_f16 v46, v51, v59, v46
	;;#ASMEND
	;; [unrolled: 13-line block ×4, first 2 shown]
	global_load_ushort v1, v[1:2], off
	v_max_f32_e32 v2, v41, v41
	v_max_f32_e32 v54, v42, v42
	v_max_f32_e32 v55, v43, v43
	s_waitcnt vmcnt(0)
	s_barrier
	v_cvt_f32_f16_e32 v48, v1
	v_cndmask_b32_e32 v1, v9, v18, vcc
	v_cmp_lt_i32_e32 vcc, v17, v10
	v_lshlrev_b32_e32 v49, 2, v1
	v_cndmask_b32_e32 v1, v9, v17, vcc
	v_cmp_lt_i32_e32 vcc, v16, v10
	v_lshlrev_b32_e32 v50, 2, v1
	;; [unrolled: 3-line block ×4, first 2 shown]
	v_cndmask_b32_e32 v1, v9, v12, vcc
	v_add_f32_e32 v47, v47, v48
	v_lshlrev_b32_e32 v53, 2, v1
	v_add_f32_e32 v1, 0x40051340, v47
	v_max_f32_e32 v1, v2, v1
	ds_bpermute_b32 v2, v49, v1
	v_add_f32_e32 v46, v46, v48
	s_waitcnt lgkmcnt(0)
	v_max_f32_e32 v2, v2, v2
	v_max_f32_e32 v1, v1, v2
	ds_bpermute_b32 v2, v50, v1
	s_waitcnt lgkmcnt(0)
	v_max_f32_e32 v2, v2, v2
	v_max_f32_e32 v1, v1, v2
	ds_bpermute_b32 v2, v51, v1
	;; [unrolled: 4-line block ×4, first 2 shown]
	s_waitcnt lgkmcnt(0)
	v_max_f32_e32 v2, v2, v2
	v_max_f32_e32 v1, v1, v2
	v_add_f32_e32 v2, 0x40051340, v46
	v_max_f32_e32 v2, v54, v2
	ds_bpermute_b32 v54, v49, v2
	v_sub_f32_e32 v41, v41, v1
	v_cmp_ngt_f32_e32 vcc, s11, v41
	s_waitcnt lgkmcnt(0)
	v_max_f32_e32 v54, v54, v54
	v_max_f32_e32 v2, v2, v54
	ds_bpermute_b32 v54, v50, v2
	s_waitcnt lgkmcnt(0)
	v_max_f32_e32 v54, v54, v54
	v_max_f32_e32 v2, v2, v54
	ds_bpermute_b32 v54, v51, v2
	;; [unrolled: 4-line block ×4, first 2 shown]
	s_waitcnt lgkmcnt(0)
	v_max_f32_e32 v54, v54, v54
	v_max_f32_e32 v2, v2, v54
	v_add_f32_e32 v54, v3, v48
	v_add_f32_e32 v3, 0x40051340, v54
	v_max_f32_e32 v3, v55, v3
	ds_bpermute_b32 v55, v49, v3
	v_add_f32_e32 v48, v4, v48
	v_add_f32_e32 v4, 0x40051340, v48
	v_sub_f32_e32 v42, v42, v2
	s_waitcnt lgkmcnt(0)
	v_max_f32_e32 v55, v55, v55
	v_max_f32_e32 v3, v3, v55
	ds_bpermute_b32 v55, v50, v3
	s_waitcnt lgkmcnt(0)
	v_max_f32_e32 v55, v55, v55
	v_max_f32_e32 v3, v3, v55
	ds_bpermute_b32 v55, v51, v3
	;; [unrolled: 4-line block ×4, first 2 shown]
	s_waitcnt lgkmcnt(0)
	v_max_f32_e32 v55, v55, v55
	v_max_f32_e32 v3, v3, v55
	;; [unrolled: 1-line block ×4, first 2 shown]
	ds_bpermute_b32 v49, v49, v4
	v_sub_f32_e32 v43, v43, v3
	s_waitcnt lgkmcnt(0)
	v_max_f32_e32 v49, v49, v49
	v_max_f32_e32 v4, v4, v49
	ds_bpermute_b32 v49, v50, v4
	s_waitcnt lgkmcnt(0)
	v_max_f32_e32 v49, v49, v49
	v_max_f32_e32 v4, v4, v49
	ds_bpermute_b32 v49, v51, v4
	;; [unrolled: 4-line block ×4, first 2 shown]
	s_waitcnt lgkmcnt(0)
	v_max_f32_e32 v49, v49, v49
	v_max_f32_e32 v4, v4, v49
	v_mul_f32_e32 v49, 0x3fb8aa3b, v41
	v_fma_f32 v50, v41, s10, -v49
	v_rndne_f32_e32 v51, v49
	v_fmac_f32_e32 v50, 0x32a5705f, v41
	v_sub_f32_e32 v49, v49, v51
	v_add_f32_e32 v49, v49, v50
	v_exp_f32_e32 v49, v49
	v_cvt_i32_f32_e32 v50, v51
	v_sub_f32_e32 v6, v6, v4
	v_ldexp_f32 v49, v49, v50
	v_cndmask_b32_e32 v49, 0, v49, vcc
	v_cmp_nlt_f32_e32 vcc, s12, v41
	v_sub_f32_e32 v41, v47, v1
	v_mul_f32_e32 v47, 0x3fb8aa3b, v41
	v_fma_f32 v50, v41, s10, -v47
	v_rndne_f32_e32 v51, v47
	v_fmac_f32_e32 v50, 0x32a5705f, v41
	v_sub_f32_e32 v47, v47, v51
	v_add_f32_e32 v47, v47, v50
	v_exp_f32_e32 v47, v47
	v_cvt_i32_f32_e32 v50, v51
	v_cndmask_b32_e32 v49, v29, v49, vcc
	v_cmp_ngt_f32_e32 vcc, s11, v41
	v_ldexp_f32 v47, v47, v50
	v_cndmask_b32_e32 v47, 0, v47, vcc
	v_cmp_nlt_f32_e32 vcc, s12, v41
	v_cndmask_b32_e32 v41, v29, v47, vcc
	v_cvt_f16_f32_e32 v47, v41
	v_fmac_f32_e32 v41, v45, v49
	v_cvt_f16_f32_e32 v45, v49
	v_mul_f32_e32 v49, 0x3fb8aa3b, v42
	v_fma_f32 v50, v42, s10, -v49
	v_rndne_f32_e32 v51, v49
	v_fmac_f32_e32 v50, 0x32a5705f, v42
	v_sub_f32_e32 v49, v49, v51
	v_add_f32_e32 v49, v49, v50
	v_exp_f32_e32 v49, v49
	v_cvt_i32_f32_e32 v50, v51
	v_cmp_ngt_f32_e32 vcc, s11, v42
	v_mul_u32_u24_e32 v45, 0x10001, v45
	v_pk_mul_f16 v40, v40, v45
	v_ldexp_f32 v49, v49, v50
	v_cndmask_b32_e32 v49, 0, v49, vcc
	v_cmp_nlt_f32_e32 vcc, s12, v42
	v_sub_f32_e32 v42, v46, v2
	v_mul_f32_e32 v46, 0x3fb8aa3b, v42
	v_fma_f32 v50, v42, s10, -v46
	v_rndne_f32_e32 v51, v46
	v_fmac_f32_e32 v50, 0x32a5705f, v42
	v_sub_f32_e32 v46, v46, v51
	v_add_f32_e32 v46, v46, v50
	v_exp_f32_e32 v46, v46
	v_cvt_i32_f32_e32 v50, v51
	v_cndmask_b32_e32 v49, v29, v49, vcc
	v_cmp_ngt_f32_e32 vcc, s11, v42
	v_ldexp_f32 v46, v46, v50
	v_cndmask_b32_e32 v46, 0, v46, vcc
	v_cmp_nlt_f32_e32 vcc, s12, v42
	v_cndmask_b32_e32 v42, v29, v46, vcc
	v_mul_f32_e32 v46, 0x3fb8aa3b, v43
	v_cvt_f16_f32_e32 v50, v42
	v_fmac_f32_e32 v42, v44, v49
	v_cvt_f16_f32_e32 v44, v49
	v_fma_f32 v49, v43, s10, -v46
	v_rndne_f32_e32 v51, v46
	v_fmac_f32_e32 v49, 0x32a5705f, v43
	v_sub_f32_e32 v46, v46, v51
	v_add_f32_e32 v46, v46, v49
	v_exp_f32_e32 v46, v46
	v_cvt_i32_f32_e32 v49, v51
	v_cmp_ngt_f32_e32 vcc, s11, v43
	v_pack_b32_f16 v47, v47, v50
	v_mul_u32_u24_e32 v44, 0x10001, v44
	v_ldexp_f32 v46, v46, v49
	v_cndmask_b32_e32 v46, 0, v46, vcc
	v_cmp_nlt_f32_e32 vcc, s12, v43
	v_sub_f32_e32 v43, v54, v3
	v_mul_f32_e32 v49, 0x3fb8aa3b, v43
	v_fma_f32 v51, v43, s10, -v49
	v_rndne_f32_e32 v52, v49
	v_fmac_f32_e32 v51, 0x32a5705f, v43
	v_sub_f32_e32 v49, v49, v52
	v_add_f32_e32 v49, v49, v51
	v_exp_f32_e32 v49, v49
	v_cvt_i32_f32_e32 v51, v52
	v_cndmask_b32_e32 v46, v29, v46, vcc
	v_cmp_ngt_f32_e32 vcc, s11, v43
	v_pk_mul_f16 v39, v39, v44
	v_ldexp_f32 v49, v49, v51
	v_cndmask_b32_e32 v49, 0, v49, vcc
	v_cmp_nlt_f32_e32 vcc, s12, v43
	v_cndmask_b32_e32 v43, v29, v49, vcc
	v_cvt_f16_f32_e32 v49, v43
	v_fmac_f32_e32 v43, v7, v46
	v_cvt_f16_f32_e32 v7, v46
	v_cmp_ngt_f32_e32 vcc, s11, v6
	v_mul_u32_u24_e32 v46, 0x10001, v7
	v_pk_mul_f16 v7, v38, v46
	v_mul_f32_e32 v38, 0x3fb8aa3b, v6
	v_fma_f32 v51, v6, s10, -v38
	v_rndne_f32_e32 v52, v38
	v_fmac_f32_e32 v51, 0x32a5705f, v6
	v_sub_f32_e32 v38, v38, v52
	v_add_f32_e32 v38, v38, v51
	v_exp_f32_e32 v38, v38
	v_cvt_i32_f32_e32 v51, v52
	v_ldexp_f32 v38, v38, v51
	v_cndmask_b32_e32 v38, 0, v38, vcc
	v_cmp_nlt_f32_e32 vcc, s12, v6
	v_cndmask_b32_e32 v6, v29, v38, vcc
	v_sub_f32_e32 v38, v48, v4
	v_mul_f32_e32 v48, 0x3fb8aa3b, v38
	v_fma_f32 v51, v38, s10, -v48
	v_rndne_f32_e32 v52, v48
	v_fmac_f32_e32 v51, 0x32a5705f, v38
	v_sub_f32_e32 v48, v48, v52
	v_add_f32_e32 v48, v48, v51
	v_exp_f32_e32 v48, v48
	v_cvt_i32_f32_e32 v51, v52
	v_cmp_ngt_f32_e32 vcc, s11, v38
	v_ldexp_f32 v48, v48, v51
	v_cndmask_b32_e32 v48, 0, v48, vcc
	v_cmp_nlt_f32_e32 vcc, s12, v38
	v_cndmask_b32_e32 v38, v29, v48, vcc
	v_mov_b32_e32 v51, v19
	v_mov_b32_e32 v19, v38
	v_cvt_f16_f32_e32 v48, v38
	v_fmac_f32_e32 v19, v51, v6
	v_cvt_f16_f32_e32 v6, v6
	v_pack_b32_f16 v48, v49, v48
	ds_write_b64 v30, v[47:48]
	v_mul_u32_u24_e32 v6, 0x10001, v6
	v_pk_mul_f16 v37, v37, v6
	v_pk_mul_f16 v6, v36, v6
	v_add_co_u32_e32 v47, vcc, s14, v26
	v_mov_b32_e32 v36, s15
	v_addc_co_u32_e32 v48, vcc, v27, v36, vcc
	global_load_dwordx4 v[47:50], v[47:48], off
	s_or_b32 s14, s6, 16
	s_mul_hi_i32 s15, s14, s8
	s_mul_i32 s14, s14, s8
	s_lshl_b64 s[14:15], s[14:15], 2
	s_waitcnt vmcnt(0)
	ds_write_b128 v25, v[47:50]
	s_waitcnt lgkmcnt(0)
	s_barrier
	ds_read2_b64 v[47:50], v31 offset1:32
	ds_read_b128 v[51:54], v24
	ds_read_b128 v[55:58], v24 offset:16
	ds_read_b128 v[59:62], v24 offset:32
	;; [unrolled: 1-line block ×3, first 2 shown]
	s_waitcnt lgkmcnt(3)
	v_mul_u32_u24_sdwa v36, v51, s13 dst_sel:DWORD dst_unused:UNUSED_PAD src0_sel:WORD_0 src1_sel:DWORD
	v_mul_u32_u24_sdwa v38, v51, s13 dst_sel:DWORD dst_unused:UNUSED_PAD src0_sel:WORD_1 src1_sel:DWORD
	v_pk_mul_f16 v67, v47, v36
	v_mul_u32_u24_sdwa v51, v52, s13 dst_sel:DWORD dst_unused:UNUSED_PAD src0_sel:WORD_0 src1_sel:DWORD
	v_pk_fma_f16 v35, v35, v45, v67
	v_pk_mul_f16 v45, v47, v38
	v_pk_fma_f16 v34, v34, v44, v45
	v_pk_mul_f16 v44, v47, v51
	v_mul_u32_u24_sdwa v52, v52, s13 dst_sel:DWORD dst_unused:UNUSED_PAD src0_sel:WORD_1 src1_sel:DWORD
	v_pk_fma_f16 v33, v33, v46, v44
	v_pk_fma_f16 v36, v48, v36, v40
	;; [unrolled: 1-line block ×3, first 2 shown]
	v_mul_u32_u24_sdwa v39, v53, s13 dst_sel:DWORD dst_unused:UNUSED_PAD src0_sel:WORD_0 src1_sel:DWORD
	v_mul_u32_u24_sdwa v40, v53, s13 dst_sel:DWORD dst_unused:UNUSED_PAD src0_sel:WORD_1 src1_sel:DWORD
	v_mul_u32_u24_sdwa v44, v54, s13 dst_sel:DWORD dst_unused:UNUSED_PAD src0_sel:WORD_0 src1_sel:DWORD
	v_pk_fma_f16 v37, v47, v52, v37
	v_pk_fma_f16 v7, v48, v51, v7
	v_pk_fma_f16 v6, v48, v52, v6
	v_pk_fma_f16 v46, v49, v39, v35
	v_pk_fma_f16 v47, v49, v40, v34
	v_pk_fma_f16 v48, v49, v44, v33
	v_pk_fma_f16 v39, v50, v39, v36
	ds_read2_b64 v[33:36], v31 offset0:64 offset1:96
	v_mul_u32_u24_sdwa v45, v54, s13 dst_sel:DWORD dst_unused:UNUSED_PAD src0_sel:WORD_1 src1_sel:DWORD
	v_pk_fma_f16 v37, v49, v45, v37
	v_pk_fma_f16 v38, v50, v40, v38
	;; [unrolled: 1-line block ×4, first 2 shown]
	s_waitcnt lgkmcnt(3)
	v_mul_u32_u24_sdwa v40, v55, s13 dst_sel:DWORD dst_unused:UNUSED_PAD src0_sel:WORD_0 src1_sel:DWORD
	v_mul_u32_u24_sdwa v44, v55, s13 dst_sel:DWORD dst_unused:UNUSED_PAD src0_sel:WORD_1 src1_sel:DWORD
	v_mul_u32_u24_sdwa v45, v56, s13 dst_sel:DWORD dst_unused:UNUSED_PAD src0_sel:WORD_0 src1_sel:DWORD
	v_mul_u32_u24_sdwa v49, v56, s13 dst_sel:DWORD dst_unused:UNUSED_PAD src0_sel:WORD_1 src1_sel:DWORD
	s_waitcnt lgkmcnt(0)
	v_pk_fma_f16 v46, v33, v40, v46
	v_pk_fma_f16 v47, v33, v44, v47
	;; [unrolled: 1-line block ×8, first 2 shown]
	v_mul_u32_u24_sdwa v34, v57, s13 dst_sel:DWORD dst_unused:UNUSED_PAD src0_sel:WORD_0 src1_sel:DWORD
	v_mul_u32_u24_sdwa v39, v57, s13 dst_sel:DWORD dst_unused:UNUSED_PAD src0_sel:WORD_1 src1_sel:DWORD
	v_mul_u32_u24_sdwa v40, v58, s13 dst_sel:DWORD dst_unused:UNUSED_PAD src0_sel:WORD_0 src1_sel:DWORD
	v_mul_u32_u24_sdwa v44, v58, s13 dst_sel:DWORD dst_unused:UNUSED_PAD src0_sel:WORD_1 src1_sel:DWORD
	v_pk_fma_f16 v45, v35, v34, v46
	v_pk_fma_f16 v46, v35, v39, v47
	;; [unrolled: 1-line block ×8, first 2 shown]
	ds_read2_b64 v[33:36], v31 offset0:128 offset1:160
	v_mul_u32_u24_sdwa v39, v59, s13 dst_sel:DWORD dst_unused:UNUSED_PAD src0_sel:WORD_0 src1_sel:DWORD
	v_mul_u32_u24_sdwa v40, v59, s13 dst_sel:DWORD dst_unused:UNUSED_PAD src0_sel:WORD_1 src1_sel:DWORD
	v_mul_u32_u24_sdwa v44, v60, s13 dst_sel:DWORD dst_unused:UNUSED_PAD src0_sel:WORD_0 src1_sel:DWORD
	v_mul_u32_u24_sdwa v49, v60, s13 dst_sel:DWORD dst_unused:UNUSED_PAD src0_sel:WORD_1 src1_sel:DWORD
	s_waitcnt lgkmcnt(0)
	v_pk_fma_f16 v45, v33, v39, v45
	v_pk_fma_f16 v46, v33, v40, v46
	;; [unrolled: 1-line block ×8, first 2 shown]
	v_mul_u32_u24_sdwa v34, v61, s13 dst_sel:DWORD dst_unused:UNUSED_PAD src0_sel:WORD_0 src1_sel:DWORD
	v_mul_u32_u24_sdwa v39, v61, s13 dst_sel:DWORD dst_unused:UNUSED_PAD src0_sel:WORD_1 src1_sel:DWORD
	v_mul_u32_u24_sdwa v40, v62, s13 dst_sel:DWORD dst_unused:UNUSED_PAD src0_sel:WORD_0 src1_sel:DWORD
	v_mul_u32_u24_sdwa v44, v62, s13 dst_sel:DWORD dst_unused:UNUSED_PAD src0_sel:WORD_1 src1_sel:DWORD
	v_pk_fma_f16 v45, v35, v34, v45
	v_pk_fma_f16 v46, v35, v39, v46
	;; [unrolled: 1-line block ×8, first 2 shown]
	ds_read2_b64 v[33:36], v31 offset0:192 offset1:224
	v_mul_u32_u24_sdwa v39, v63, s13 dst_sel:DWORD dst_unused:UNUSED_PAD src0_sel:WORD_0 src1_sel:DWORD
	v_mul_u32_u24_sdwa v40, v63, s13 dst_sel:DWORD dst_unused:UNUSED_PAD src0_sel:WORD_1 src1_sel:DWORD
	v_mul_u32_u24_sdwa v44, v64, s13 dst_sel:DWORD dst_unused:UNUSED_PAD src0_sel:WORD_0 src1_sel:DWORD
	v_mul_u32_u24_sdwa v49, v64, s13 dst_sel:DWORD dst_unused:UNUSED_PAD src0_sel:WORD_1 src1_sel:DWORD
	s_waitcnt lgkmcnt(0)
	v_pk_fma_f16 v45, v33, v39, v45
	v_pk_fma_f16 v46, v33, v40, v46
	;; [unrolled: 1-line block ×8, first 2 shown]
	v_mul_u32_u24_sdwa v34, v65, s13 dst_sel:DWORD dst_unused:UNUSED_PAD src0_sel:WORD_0 src1_sel:DWORD
	v_mul_u32_u24_sdwa v39, v65, s13 dst_sel:DWORD dst_unused:UNUSED_PAD src0_sel:WORD_1 src1_sel:DWORD
	v_mul_u32_u24_sdwa v40, v66, s13 dst_sel:DWORD dst_unused:UNUSED_PAD src0_sel:WORD_0 src1_sel:DWORD
	v_mul_u32_u24_sdwa v44, v66, s13 dst_sel:DWORD dst_unused:UNUSED_PAD src0_sel:WORD_1 src1_sel:DWORD
	v_pk_fma_f16 v45, v35, v34, v45
	v_pk_fma_f16 v46, v35, v39, v46
	;; [unrolled: 1-line block ×8, first 2 shown]
	ds_read2_b64 v[33:36], v32 offset1:32
	ds_read_b128 v[37:40], v24 offset:64
	s_waitcnt lgkmcnt(0)
	v_mul_u32_u24_sdwa v44, v37, s13 dst_sel:DWORD dst_unused:UNUSED_PAD src0_sel:WORD_0 src1_sel:DWORD
	v_mul_u32_u24_sdwa v37, v37, s13 dst_sel:DWORD dst_unused:UNUSED_PAD src0_sel:WORD_1 src1_sel:DWORD
	v_mul_u32_u24_sdwa v51, v38, s13 dst_sel:DWORD dst_unused:UNUSED_PAD src0_sel:WORD_0 src1_sel:DWORD
	v_mul_u32_u24_sdwa v38, v38, s13 dst_sel:DWORD dst_unused:UNUSED_PAD src0_sel:WORD_1 src1_sel:DWORD
	v_pk_fma_f16 v45, v33, v44, v45
	v_pk_fma_f16 v46, v33, v37, v46
	v_pk_fma_f16 v47, v33, v51, v47
	v_pk_fma_f16 v33, v33, v38, v48
	v_pk_fma_f16 v44, v34, v44, v49
	v_pk_fma_f16 v37, v34, v37, v50
	v_pk_fma_f16 v7, v34, v51, v7
	v_pk_fma_f16 v6, v34, v38, v6
	v_mul_u32_u24_sdwa v34, v39, s13 dst_sel:DWORD dst_unused:UNUSED_PAD src0_sel:WORD_0 src1_sel:DWORD
	v_mul_u32_u24_sdwa v38, v39, s13 dst_sel:DWORD dst_unused:UNUSED_PAD src0_sel:WORD_1 src1_sel:DWORD
	v_mul_u32_u24_sdwa v39, v40, s13 dst_sel:DWORD dst_unused:UNUSED_PAD src0_sel:WORD_0 src1_sel:DWORD
	v_mul_u32_u24_sdwa v40, v40, s13 dst_sel:DWORD dst_unused:UNUSED_PAD src0_sel:WORD_1 src1_sel:DWORD
	v_pk_fma_f16 v45, v35, v34, v45
	v_pk_fma_f16 v46, v35, v38, v46
	v_pk_fma_f16 v47, v35, v39, v47
	v_pk_fma_f16 v48, v35, v40, v33
	v_pk_fma_f16 v44, v36, v34, v44
	v_pk_fma_f16 v49, v36, v38, v37
	v_pk_fma_f16 v7, v36, v39, v7
	v_pk_fma_f16 v6, v36, v40, v6
	ds_read2_b64 v[33:36], v32 offset0:64 offset1:96
	ds_read_b128 v[37:40], v24 offset:80
	s_waitcnt lgkmcnt(0)
	v_mul_u32_u24_sdwa v50, v37, s13 dst_sel:DWORD dst_unused:UNUSED_PAD src0_sel:WORD_0 src1_sel:DWORD
	v_mul_u32_u24_sdwa v37, v37, s13 dst_sel:DWORD dst_unused:UNUSED_PAD src0_sel:WORD_1 src1_sel:DWORD
	v_mul_u32_u24_sdwa v51, v38, s13 dst_sel:DWORD dst_unused:UNUSED_PAD src0_sel:WORD_0 src1_sel:DWORD
	v_mul_u32_u24_sdwa v38, v38, s13 dst_sel:DWORD dst_unused:UNUSED_PAD src0_sel:WORD_1 src1_sel:DWORD
	v_pk_fma_f16 v45, v33, v50, v45
	v_pk_fma_f16 v46, v33, v37, v46
	v_pk_fma_f16 v47, v33, v51, v47
	v_pk_fma_f16 v33, v33, v38, v48
	v_pk_fma_f16 v44, v34, v50, v44
	v_pk_fma_f16 v37, v34, v37, v49
	v_pk_fma_f16 v7, v34, v51, v7
	v_pk_fma_f16 v6, v34, v38, v6
	v_mul_u32_u24_sdwa v34, v39, s13 dst_sel:DWORD dst_unused:UNUSED_PAD src0_sel:WORD_0 src1_sel:DWORD
	v_mul_u32_u24_sdwa v38, v39, s13 dst_sel:DWORD dst_unused:UNUSED_PAD src0_sel:WORD_1 src1_sel:DWORD
	v_mul_u32_u24_sdwa v39, v40, s13 dst_sel:DWORD dst_unused:UNUSED_PAD src0_sel:WORD_0 src1_sel:DWORD
	v_mul_u32_u24_sdwa v40, v40, s13 dst_sel:DWORD dst_unused:UNUSED_PAD src0_sel:WORD_1 src1_sel:DWORD
	v_pk_fma_f16 v45, v35, v34, v45
	v_pk_fma_f16 v46, v35, v38, v46
	v_pk_fma_f16 v47, v35, v39, v47
	v_pk_fma_f16 v48, v35, v40, v33
	v_pk_fma_f16 v44, v36, v34, v44
	v_pk_fma_f16 v49, v36, v38, v37
	v_pk_fma_f16 v7, v36, v39, v7
	v_pk_fma_f16 v6, v36, v40, v6
	ds_read2_b64 v[33:36], v32 offset0:128 offset1:160
	;; [unrolled: 27-line block ×3, first 2 shown]
	ds_read_b128 v[33:36], v24 offset:112
	s_waitcnt lgkmcnt(0)
	s_barrier
	v_mul_u32_u24_sdwa v50, v33, s13 dst_sel:DWORD dst_unused:UNUSED_PAD src0_sel:WORD_0 src1_sel:DWORD
	v_mul_u32_u24_sdwa v33, v33, s13 dst_sel:DWORD dst_unused:UNUSED_PAD src0_sel:WORD_1 src1_sel:DWORD
	v_mul_u32_u24_sdwa v51, v34, s13 dst_sel:DWORD dst_unused:UNUSED_PAD src0_sel:WORD_0 src1_sel:DWORD
	v_mul_u32_u24_sdwa v34, v34, s13 dst_sel:DWORD dst_unused:UNUSED_PAD src0_sel:WORD_1 src1_sel:DWORD
	v_pk_fma_f16 v45, v37, v50, v45
	v_pk_fma_f16 v46, v37, v33, v46
	;; [unrolled: 1-line block ×8, first 2 shown]
	v_mul_u32_u24_sdwa v38, v35, s13 dst_sel:DWORD dst_unused:UNUSED_PAD src0_sel:WORD_0 src1_sel:DWORD
	v_mul_u32_u24_sdwa v49, v35, s13 dst_sel:DWORD dst_unused:UNUSED_PAD src0_sel:WORD_1 src1_sel:DWORD
	v_mul_u32_u24_sdwa v50, v36, s13 dst_sel:DWORD dst_unused:UNUSED_PAD src0_sel:WORD_0 src1_sel:DWORD
	v_mul_u32_u24_sdwa v51, v36, s13 dst_sel:DWORD dst_unused:UNUSED_PAD src0_sel:WORD_1 src1_sel:DWORD
	v_pk_fma_f16 v33, v39, v38, v45
	v_pk_fma_f16 v34, v39, v49, v46
	v_pk_fma_f16 v35, v39, v50, v47
	v_pk_fma_f16 v36, v39, v51, v37
	v_pk_fma_f16 v37, v40, v38, v44
	v_pk_fma_f16 v38, v40, v49, v48
	v_pk_fma_f16 v39, v40, v50, v7
	v_pk_fma_f16 v40, v40, v51, v6
	v_add_co_u32_e32 v6, vcc, s14, v26
	v_mov_b32_e32 v7, s15
	v_addc_co_u32_e32 v7, vcc, v27, v7, vcc
	global_load_dwordx4 v[44:47], v[6:7], off
	s_waitcnt vmcnt(0)
	ds_write_b128 v25, v[44:47]
	s_waitcnt lgkmcnt(0)
	s_barrier
	ds_read2_b64 v[44:47], v31 offset1:32
	ds_read_b128 v[48:51], v24 offset:128
	ds_read_b128 v[52:55], v24 offset:144
	;; [unrolled: 1-line block ×4, first 2 shown]
	s_waitcnt lgkmcnt(3)
	v_mul_u32_u24_sdwa v6, v48, s13 dst_sel:DWORD dst_unused:UNUSED_PAD src0_sel:WORD_0 src1_sel:DWORD
	v_mul_u32_u24_sdwa v7, v48, s13 dst_sel:DWORD dst_unused:UNUSED_PAD src0_sel:WORD_1 src1_sel:DWORD
	v_mul_u32_u24_sdwa v48, v49, s13 dst_sel:DWORD dst_unused:UNUSED_PAD src0_sel:WORD_0 src1_sel:DWORD
	v_mul_u32_u24_sdwa v49, v49, s13 dst_sel:DWORD dst_unused:UNUSED_PAD src0_sel:WORD_1 src1_sel:DWORD
	v_pk_fma_f16 v33, v44, v6, v33
	v_pk_fma_f16 v34, v44, v7, v34
	;; [unrolled: 1-line block ×8, first 2 shown]
	v_mul_u32_u24_sdwa v39, v50, s13 dst_sel:DWORD dst_unused:UNUSED_PAD src0_sel:WORD_0 src1_sel:DWORD
	v_mul_u32_u24_sdwa v40, v50, s13 dst_sel:DWORD dst_unused:UNUSED_PAD src0_sel:WORD_1 src1_sel:DWORD
	v_mul_u32_u24_sdwa v44, v51, s13 dst_sel:DWORD dst_unused:UNUSED_PAD src0_sel:WORD_0 src1_sel:DWORD
	v_mul_u32_u24_sdwa v45, v51, s13 dst_sel:DWORD dst_unused:UNUSED_PAD src0_sel:WORD_1 src1_sel:DWORD
	v_pk_fma_f16 v48, v46, v39, v33
	v_pk_fma_f16 v49, v46, v40, v34
	;; [unrolled: 1-line block ×4, first 2 shown]
	ds_read2_b64 v[33:36], v31 offset0:64 offset1:96
	v_pk_fma_f16 v6, v47, v39, v6
	v_pk_fma_f16 v7, v47, v40, v7
	;; [unrolled: 1-line block ×4, first 2 shown]
	s_waitcnt lgkmcnt(3)
	v_mul_u32_u24_sdwa v39, v52, s13 dst_sel:DWORD dst_unused:UNUSED_PAD src0_sel:WORD_0 src1_sel:DWORD
	v_mul_u32_u24_sdwa v40, v52, s13 dst_sel:DWORD dst_unused:UNUSED_PAD src0_sel:WORD_1 src1_sel:DWORD
	v_mul_u32_u24_sdwa v44, v53, s13 dst_sel:DWORD dst_unused:UNUSED_PAD src0_sel:WORD_0 src1_sel:DWORD
	v_mul_u32_u24_sdwa v45, v53, s13 dst_sel:DWORD dst_unused:UNUSED_PAD src0_sel:WORD_1 src1_sel:DWORD
	s_waitcnt lgkmcnt(0)
	v_pk_fma_f16 v47, v33, v39, v48
	v_pk_fma_f16 v48, v33, v40, v49
	;; [unrolled: 1-line block ×8, first 2 shown]
	v_mul_u32_u24_sdwa v38, v54, s13 dst_sel:DWORD dst_unused:UNUSED_PAD src0_sel:WORD_0 src1_sel:DWORD
	v_mul_u32_u24_sdwa v39, v54, s13 dst_sel:DWORD dst_unused:UNUSED_PAD src0_sel:WORD_1 src1_sel:DWORD
	v_mul_u32_u24_sdwa v40, v55, s13 dst_sel:DWORD dst_unused:UNUSED_PAD src0_sel:WORD_0 src1_sel:DWORD
	v_mul_u32_u24_sdwa v44, v55, s13 dst_sel:DWORD dst_unused:UNUSED_PAD src0_sel:WORD_1 src1_sel:DWORD
	v_pk_fma_f16 v45, v35, v38, v47
	v_pk_fma_f16 v46, v35, v39, v48
	;; [unrolled: 1-line block ×8, first 2 shown]
	ds_read2_b64 v[33:36], v31 offset0:128 offset1:160
	v_mul_u32_u24_sdwa v39, v56, s13 dst_sel:DWORD dst_unused:UNUSED_PAD src0_sel:WORD_0 src1_sel:DWORD
	v_mul_u32_u24_sdwa v40, v56, s13 dst_sel:DWORD dst_unused:UNUSED_PAD src0_sel:WORD_1 src1_sel:DWORD
	v_mul_u32_u24_sdwa v44, v57, s13 dst_sel:DWORD dst_unused:UNUSED_PAD src0_sel:WORD_0 src1_sel:DWORD
	v_mul_u32_u24_sdwa v49, v57, s13 dst_sel:DWORD dst_unused:UNUSED_PAD src0_sel:WORD_1 src1_sel:DWORD
	s_waitcnt lgkmcnt(0)
	v_pk_fma_f16 v45, v33, v39, v45
	v_pk_fma_f16 v46, v33, v40, v46
	;; [unrolled: 1-line block ×8, first 2 shown]
	v_mul_u32_u24_sdwa v38, v58, s13 dst_sel:DWORD dst_unused:UNUSED_PAD src0_sel:WORD_0 src1_sel:DWORD
	v_mul_u32_u24_sdwa v39, v58, s13 dst_sel:DWORD dst_unused:UNUSED_PAD src0_sel:WORD_1 src1_sel:DWORD
	v_mul_u32_u24_sdwa v40, v59, s13 dst_sel:DWORD dst_unused:UNUSED_PAD src0_sel:WORD_0 src1_sel:DWORD
	v_mul_u32_u24_sdwa v44, v59, s13 dst_sel:DWORD dst_unused:UNUSED_PAD src0_sel:WORD_1 src1_sel:DWORD
	v_pk_fma_f16 v45, v35, v38, v45
	v_pk_fma_f16 v46, v35, v39, v46
	;; [unrolled: 1-line block ×8, first 2 shown]
	ds_read2_b64 v[33:36], v31 offset0:192 offset1:224
	v_mul_u32_u24_sdwa v39, v60, s13 dst_sel:DWORD dst_unused:UNUSED_PAD src0_sel:WORD_0 src1_sel:DWORD
	v_mul_u32_u24_sdwa v40, v60, s13 dst_sel:DWORD dst_unused:UNUSED_PAD src0_sel:WORD_1 src1_sel:DWORD
	v_mul_u32_u24_sdwa v44, v61, s13 dst_sel:DWORD dst_unused:UNUSED_PAD src0_sel:WORD_0 src1_sel:DWORD
	v_mul_u32_u24_sdwa v49, v61, s13 dst_sel:DWORD dst_unused:UNUSED_PAD src0_sel:WORD_1 src1_sel:DWORD
	s_waitcnt lgkmcnt(0)
	v_pk_fma_f16 v45, v33, v39, v45
	v_pk_fma_f16 v46, v33, v40, v46
	;; [unrolled: 1-line block ×8, first 2 shown]
	v_mul_u32_u24_sdwa v38, v62, s13 dst_sel:DWORD dst_unused:UNUSED_PAD src0_sel:WORD_0 src1_sel:DWORD
	v_mul_u32_u24_sdwa v39, v62, s13 dst_sel:DWORD dst_unused:UNUSED_PAD src0_sel:WORD_1 src1_sel:DWORD
	v_mul_u32_u24_sdwa v40, v63, s13 dst_sel:DWORD dst_unused:UNUSED_PAD src0_sel:WORD_0 src1_sel:DWORD
	v_mul_u32_u24_sdwa v44, v63, s13 dst_sel:DWORD dst_unused:UNUSED_PAD src0_sel:WORD_1 src1_sel:DWORD
	v_pk_fma_f16 v45, v35, v38, v45
	v_pk_fma_f16 v46, v35, v39, v46
	;; [unrolled: 1-line block ×8, first 2 shown]
	ds_read2_b64 v[33:36], v32 offset1:32
	ds_read_b128 v[37:40], v24 offset:192
	s_waitcnt lgkmcnt(0)
	v_mul_u32_u24_sdwa v50, v37, s13 dst_sel:DWORD dst_unused:UNUSED_PAD src0_sel:WORD_0 src1_sel:DWORD
	v_mul_u32_u24_sdwa v37, v37, s13 dst_sel:DWORD dst_unused:UNUSED_PAD src0_sel:WORD_1 src1_sel:DWORD
	v_mul_u32_u24_sdwa v51, v38, s13 dst_sel:DWORD dst_unused:UNUSED_PAD src0_sel:WORD_0 src1_sel:DWORD
	v_mul_u32_u24_sdwa v38, v38, s13 dst_sel:DWORD dst_unused:UNUSED_PAD src0_sel:WORD_1 src1_sel:DWORD
	v_pk_fma_f16 v45, v33, v50, v45
	v_pk_fma_f16 v46, v33, v37, v46
	v_pk_fma_f16 v47, v33, v51, v47
	v_pk_fma_f16 v33, v33, v38, v48
	v_pk_fma_f16 v6, v34, v50, v6
	v_pk_fma_f16 v7, v34, v37, v7
	v_pk_fma_f16 v37, v34, v51, v49
	v_pk_fma_f16 v34, v34, v38, v44
	v_mul_u32_u24_sdwa v38, v39, s13 dst_sel:DWORD dst_unused:UNUSED_PAD src0_sel:WORD_0 src1_sel:DWORD
	v_mul_u32_u24_sdwa v39, v39, s13 dst_sel:DWORD dst_unused:UNUSED_PAD src0_sel:WORD_1 src1_sel:DWORD
	v_mul_u32_u24_sdwa v44, v40, s13 dst_sel:DWORD dst_unused:UNUSED_PAD src0_sel:WORD_0 src1_sel:DWORD
	v_mul_u32_u24_sdwa v40, v40, s13 dst_sel:DWORD dst_unused:UNUSED_PAD src0_sel:WORD_1 src1_sel:DWORD
	v_pk_fma_f16 v45, v35, v38, v45
	v_pk_fma_f16 v46, v35, v39, v46
	v_pk_fma_f16 v47, v35, v44, v47
	v_pk_fma_f16 v48, v35, v40, v33
	v_pk_fma_f16 v6, v36, v38, v6
	v_pk_fma_f16 v7, v36, v39, v7
	v_pk_fma_f16 v44, v36, v44, v37
	v_pk_fma_f16 v49, v36, v40, v34
	ds_read2_b64 v[33:36], v32 offset0:64 offset1:96
	ds_read_b128 v[37:40], v24 offset:208
	s_waitcnt lgkmcnt(0)
	v_mul_u32_u24_sdwa v50, v37, s13 dst_sel:DWORD dst_unused:UNUSED_PAD src0_sel:WORD_0 src1_sel:DWORD
	v_mul_u32_u24_sdwa v37, v37, s13 dst_sel:DWORD dst_unused:UNUSED_PAD src0_sel:WORD_1 src1_sel:DWORD
	v_mul_u32_u24_sdwa v51, v38, s13 dst_sel:DWORD dst_unused:UNUSED_PAD src0_sel:WORD_0 src1_sel:DWORD
	v_mul_u32_u24_sdwa v38, v38, s13 dst_sel:DWORD dst_unused:UNUSED_PAD src0_sel:WORD_1 src1_sel:DWORD
	v_pk_fma_f16 v45, v33, v50, v45
	v_pk_fma_f16 v46, v33, v37, v46
	v_pk_fma_f16 v47, v33, v51, v47
	v_pk_fma_f16 v33, v33, v38, v48
	v_pk_fma_f16 v6, v34, v50, v6
	v_pk_fma_f16 v7, v34, v37, v7
	v_pk_fma_f16 v37, v34, v51, v44
	v_pk_fma_f16 v34, v34, v38, v49
	v_mul_u32_u24_sdwa v38, v39, s13 dst_sel:DWORD dst_unused:UNUSED_PAD src0_sel:WORD_0 src1_sel:DWORD
	v_mul_u32_u24_sdwa v39, v39, s13 dst_sel:DWORD dst_unused:UNUSED_PAD src0_sel:WORD_1 src1_sel:DWORD
	v_mul_u32_u24_sdwa v44, v40, s13 dst_sel:DWORD dst_unused:UNUSED_PAD src0_sel:WORD_0 src1_sel:DWORD
	v_mul_u32_u24_sdwa v40, v40, s13 dst_sel:DWORD dst_unused:UNUSED_PAD src0_sel:WORD_1 src1_sel:DWORD
	v_pk_fma_f16 v45, v35, v38, v45
	v_pk_fma_f16 v46, v35, v39, v46
	v_pk_fma_f16 v47, v35, v44, v47
	v_pk_fma_f16 v48, v35, v40, v33
	v_pk_fma_f16 v6, v36, v38, v6
	v_pk_fma_f16 v7, v36, v39, v7
	v_pk_fma_f16 v44, v36, v44, v37
	v_pk_fma_f16 v49, v36, v40, v34
	ds_read2_b64 v[33:36], v32 offset0:128 offset1:160
	;; [unrolled: 27-line block ×3, first 2 shown]
	ds_read_b128 v[33:36], v24 offset:240
	s_waitcnt lgkmcnt(0)
	s_barrier
	s_load_dword s14, s[0:1], 0x4
	v_mul_u32_u24_sdwa v39, v33, s13 dst_sel:DWORD dst_unused:UNUSED_PAD src0_sel:WORD_0 src1_sel:DWORD
	v_mul_u32_u24_sdwa v33, v33, s13 dst_sel:DWORD dst_unused:UNUSED_PAD src0_sel:WORD_1 src1_sel:DWORD
	v_mul_u32_u24_sdwa v40, v34, s13 dst_sel:DWORD dst_unused:UNUSED_PAD src0_sel:WORD_0 src1_sel:DWORD
	v_mul_u32_u24_sdwa v34, v34, s13 dst_sel:DWORD dst_unused:UNUSED_PAD src0_sel:WORD_1 src1_sel:DWORD
	s_waitcnt lgkmcnt(0)
	s_lshl_b32 s14, s14, 5
	v_pk_fma_f16 v48, v44, v39, v48
	v_pk_fma_f16 v49, v44, v33, v49
	;; [unrolled: 1-line block ×8, first 2 shown]
	v_mul_u32_u24_sdwa v38, v35, s13 dst_sel:DWORD dst_unused:UNUSED_PAD src0_sel:WORD_0 src1_sel:DWORD
	v_mul_u32_u24_sdwa v39, v35, s13 dst_sel:DWORD dst_unused:UNUSED_PAD src0_sel:WORD_1 src1_sel:DWORD
	v_mul_u32_u24_sdwa v52, v36, s13 dst_sel:DWORD dst_unused:UNUSED_PAD src0_sel:WORD_0 src1_sel:DWORD
	v_mul_u32_u24_sdwa v36, v36, s13 dst_sel:DWORD dst_unused:UNUSED_PAD src0_sel:WORD_1 src1_sel:DWORD
	s_add_i32 s6, s14, s6
	v_pk_fma_f16 v35, v46, v38, v48
	v_pk_fma_f16 v34, v46, v39, v49
	;; [unrolled: 1-line block ×8, first 2 shown]
	s_cmp_ge_i32 s6, s24
	s_cbranch_scc0 .LBB9_17
.LBB9_18:
	v_cmp_lt_i32_e32 vcc, v18, v10
	v_cndmask_b32_e32 v5, v9, v18, vcc
	v_cmp_lt_i32_e32 vcc, v17, v10
	v_cndmask_b32_e32 v7, v9, v17, vcc
	;; [unrolled: 2-line block ×3, first 2 shown]
	v_cmp_lt_i32_e32 vcc, v11, v10
	v_lshlrev_b32_e32 v5, 2, v5
	v_cndmask_b32_e32 v11, v9, v11, vcc
	v_cmp_lt_i32_e32 vcc, v12, v10
	ds_bpermute_b32 v6, v5, v41
	v_cndmask_b32_e32 v9, v9, v12, vcc
	v_lshlrev_b32_e32 v10, 2, v11
	ds_bpermute_b32 v11, v5, v42
	ds_bpermute_b32 v12, v5, v43
	ds_bpermute_b32 v5, v5, v19
	v_lshlrev_b32_e32 v7, 2, v7
	s_waitcnt lgkmcnt(3)
	v_add_f32_e32 v6, v41, v6
	s_waitcnt lgkmcnt(2)
	v_add_f32_e32 v11, v42, v11
	s_waitcnt lgkmcnt(1)
	v_add_f32_e32 v12, v43, v12
	s_waitcnt lgkmcnt(0)
	v_add_f32_e32 v5, v19, v5
	ds_bpermute_b32 v8, v7, v6
	ds_bpermute_b32 v17, v7, v11
	ds_bpermute_b32 v18, v7, v12
	ds_bpermute_b32 v7, v7, v5
	v_lshlrev_b32_e32 v16, 2, v16
	s_waitcnt lgkmcnt(3)
	v_add_f32_e32 v6, v6, v8
	s_waitcnt lgkmcnt(2)
	v_add_f32_e32 v11, v11, v17
	s_waitcnt lgkmcnt(1)
	v_add_f32_e32 v12, v12, v18
	s_waitcnt lgkmcnt(0)
	v_add_f32_e32 v5, v5, v7
	ds_bpermute_b32 v8, v16, v6
	;; [unrolled: 13-line block ×3, first 2 shown]
	ds_bpermute_b32 v16, v10, v11
	ds_bpermute_b32 v17, v10, v12
	;; [unrolled: 1-line block ×3, first 2 shown]
	s_cmp_lg_u64 s[16:17], 0
	s_waitcnt lgkmcnt(3)
	v_add_f32_e32 v6, v6, v8
	s_waitcnt lgkmcnt(2)
	v_add_f32_e32 v10, v11, v16
	;; [unrolled: 2-line block ×4, first 2 shown]
	ds_bpermute_b32 v8, v9, v6
	ds_bpermute_b32 v11, v9, v10
	;; [unrolled: 1-line block ×4, first 2 shown]
	s_cselect_b64 s[0:1], -1, 0
	s_cmp_eq_u32 s7, 0
	s_cselect_b64 s[8:9], -1, 0
	s_and_b64 s[0:1], s[8:9], s[0:1]
	s_waitcnt lgkmcnt(3)
	v_add_f32_e32 v5, v6, v8
	s_waitcnt lgkmcnt(2)
	v_add_f32_e32 v6, v10, v11
	;; [unrolled: 2-line block ×4, first 2 shown]
	s_and_b64 vcc, exec, s[0:1]
	s_cbranch_vccz .LBB9_21
; %bb.19:
	v_add_u32_e32 v9, s25, v14
	v_ashrrev_i32_e32 v10, 31, v9
	v_lshlrev_b64 v[9:10], 2, v[9:10]
	v_mov_b32_e32 v11, s17
	v_add_co_u32_e32 v9, vcc, s16, v9
	v_addc_co_u32_e32 v10, vcc, v11, v10, vcc
	global_load_dwordx4 v[9:12], v[9:10], off
	v_max_f32_e32 v16, v1, v1
	v_max_f32_e32 v17, v2, v2
	s_mov_b32 s6, 0x3fb8aa3b
	v_max_f32_e32 v18, v3, v3
	s_mov_b32 s1, 0xc2ce8ed0
	s_mov_b32 s0, 0x42b17218
	v_mov_b32_e32 v20, 0x7f800000
	s_waitcnt vmcnt(0)
	v_max_f32_e32 v19, v9, v9
	v_max_f32_e32 v16, v16, v19
	;; [unrolled: 1-line block ×3, first 2 shown]
	v_sub_f32_e32 v1, v1, v16
	v_max_f32_e32 v17, v17, v21
	v_sub_f32_e32 v9, v9, v16
	v_mul_f32_e32 v19, 0x3fb8aa3b, v1
	v_max_f32_e32 v22, v11, v11
	v_sub_f32_e32 v2, v2, v17
	v_mul_f32_e32 v21, 0x3fb8aa3b, v9
	v_fma_f32 v26, v1, s6, -v19
	v_rndne_f32_e32 v27, v19
	v_max_f32_e32 v18, v18, v22
	v_sub_f32_e32 v10, v10, v17
	v_mul_f32_e32 v22, 0x3fb8aa3b, v2
	v_fma_f32 v28, v9, s6, -v21
	v_rndne_f32_e32 v29, v21
	v_fmac_f32_e32 v26, 0x32a5705f, v1
	v_sub_f32_e32 v19, v19, v27
	v_mul_f32_e32 v23, 0x3fb8aa3b, v10
	v_fma_f32 v30, v2, s6, -v22
	v_rndne_f32_e32 v31, v22
	v_fmac_f32_e32 v28, 0x32a5705f, v9
	v_sub_f32_e32 v21, v21, v29
	v_add_f32_e32 v19, v19, v26
	v_fma_f32 v32, v10, s6, -v23
	v_rndne_f32_e32 v41, v23
	v_cvt_i32_f32_e32 v27, v27
	v_fmac_f32_e32 v30, 0x32a5705f, v2
	v_sub_f32_e32 v22, v22, v31
	v_add_f32_e32 v21, v21, v28
	v_exp_f32_e32 v19, v19
	v_cvt_i32_f32_e32 v29, v29
	v_fmac_f32_e32 v32, 0x32a5705f, v10
	v_sub_f32_e32 v23, v23, v41
	v_add_f32_e32 v22, v22, v30
	v_exp_f32_e32 v21, v21
	v_cvt_i32_f32_e32 v31, v31
	v_add_f32_e32 v23, v23, v32
	v_exp_f32_e32 v22, v22
	v_cvt_i32_f32_e32 v41, v41
	v_exp_f32_e32 v23, v23
	v_ldexp_f32 v19, v19, v27
	v_cmp_ngt_f32_e32 vcc, s1, v1
	v_ldexp_f32 v21, v21, v29
	v_cndmask_b32_e32 v19, 0, v19, vcc
	v_cmp_ngt_f32_e32 vcc, s1, v9
	v_ldexp_f32 v22, v22, v31
	v_cndmask_b32_e32 v21, 0, v21, vcc
	;; [unrolled: 3-line block ×3, first 2 shown]
	v_cmp_ngt_f32_e32 vcc, s1, v10
	v_cndmask_b32_e32 v23, 0, v23, vcc
	v_cmp_nlt_f32_e32 vcc, s0, v1
	v_cndmask_b32_e32 v1, v20, v19, vcc
	v_cmp_nlt_f32_e32 vcc, s0, v9
	v_sub_f32_e32 v3, v3, v18
	v_cndmask_b32_e32 v9, v20, v21, vcc
	v_cmp_nlt_f32_e32 vcc, s0, v2
	v_mul_f32_e32 v24, 0x3fb8aa3b, v3
	v_cndmask_b32_e32 v2, v20, v22, vcc
	v_sub_f32_e32 v11, v11, v18
	v_fma_f32 v42, v3, s6, -v24
	v_rndne_f32_e32 v43, v24
	v_cvt_f16_f32_e32 v19, v1
	v_cvt_f16_f32_e32 v21, v2
	v_mul_f32_e32 v25, 0x3fb8aa3b, v11
	v_fmac_f32_e32 v42, 0x32a5705f, v3
	v_sub_f32_e32 v24, v24, v43
	v_fma_f32 v44, v11, s6, -v25
	v_rndne_f32_e32 v45, v25
	v_add_f32_e32 v24, v24, v42
	v_cmp_nlt_f32_e32 vcc, s0, v10
	v_cvt_i32_f32_e32 v43, v43
	v_fmac_f32_e32 v44, 0x32a5705f, v11
	v_sub_f32_e32 v25, v25, v45
	v_exp_f32_e32 v24, v24
	v_cndmask_b32_e32 v10, v20, v23, vcc
	v_add_f32_e32 v25, v25, v44
	v_fmac_f32_e32 v9, v5, v1
	v_fmac_f32_e32 v10, v6, v2
	v_mul_u32_u24_e32 v1, 0x10001, v19
	v_mul_u32_u24_e32 v2, 0x10001, v21
	v_pk_mul_f16 v35, v35, v1
	v_pk_mul_f16 v40, v40, v1
	;; [unrolled: 1-line block ×4, first 2 shown]
	v_exp_f32_e32 v1, v25
	v_cvt_i32_f32_e32 v2, v45
	v_ldexp_f32 v24, v24, v43
	v_cmp_ngt_f32_e32 vcc, s1, v3
	v_cndmask_b32_e32 v5, 0, v24, vcc
	v_cmp_nlt_f32_e32 vcc, s0, v3
	v_cndmask_b32_e32 v3, v20, v5, vcc
	v_ldexp_f32 v1, v1, v2
	v_cmp_ngt_f32_e32 vcc, s1, v11
	v_cndmask_b32_e32 v1, 0, v1, vcc
	v_cmp_nlt_f32_e32 vcc, s0, v11
	v_cndmask_b32_e32 v11, v20, v1, vcc
	v_fmac_f32_e32 v11, v7, v3
	v_cvt_f16_f32_e32 v1, v3
	v_max_f32_e32 v2, v12, v12
	v_max_f32_e32 v3, v4, v4
	;; [unrolled: 1-line block ×3, first 2 shown]
	v_sub_f32_e32 v2, v4, v19
	v_mul_f32_e32 v3, 0x3fb8aa3b, v2
	v_fma_f32 v4, v2, s6, -v3
	v_rndne_f32_e32 v5, v3
	v_fmac_f32_e32 v4, 0x32a5705f, v2
	v_sub_f32_e32 v3, v3, v5
	v_add_f32_e32 v3, v3, v4
	v_exp_f32_e32 v3, v3
	v_cvt_i32_f32_e32 v4, v5
	v_mul_u32_u24_e32 v1, 0x10001, v1
	v_pk_mul_f16 v33, v33, v1
	v_pk_mul_f16 v38, v38, v1
	v_ldexp_f32 v1, v3, v4
	v_sub_f32_e32 v3, v12, v19
	v_mul_f32_e32 v4, 0x3fb8aa3b, v3
	v_fma_f32 v5, v3, s6, -v4
	v_rndne_f32_e32 v6, v4
	v_fmac_f32_e32 v5, 0x32a5705f, v3
	v_sub_f32_e32 v4, v4, v6
	v_add_f32_e32 v4, v4, v5
	v_exp_f32_e32 v4, v4
	v_cvt_i32_f32_e32 v5, v6
	v_cmp_ngt_f32_e32 vcc, s1, v2
	v_cndmask_b32_e32 v1, 0, v1, vcc
	v_cmp_nlt_f32_e32 vcc, s0, v2
	v_cndmask_b32_e32 v1, v20, v1, vcc
	v_ldexp_f32 v2, v4, v5
	v_cvt_f16_f32_e32 v4, v1
	v_cmp_ngt_f32_e32 vcc, s1, v3
	v_cndmask_b32_e32 v2, 0, v2, vcc
	v_cmp_nlt_f32_e32 vcc, s0, v3
	v_cndmask_b32_e32 v12, v20, v2, vcc
	v_fmac_f32_e32 v12, v8, v1
	v_mul_u32_u24_e32 v1, 0x10001, v4
	v_pk_mul_f16 v37, v37, v1
	v_pk_mul_f16 v36, v36, v1
	v_mov_b32_e32 v1, v16
	v_mov_b32_e32 v2, v17
	;; [unrolled: 1-line block ×8, first 2 shown]
	v_cmp_gt_i32_e32 vcc, s2, v13
	s_and_saveexec_b64 s[0:1], vcc
	s_cbranch_execnz .LBB9_22
.LBB9_20:
	s_endpgm
.LBB9_21:
	v_mov_b32_e32 v12, v8
	v_mov_b32_e32 v11, v7
	;; [unrolled: 1-line block ×4, first 2 shown]
	v_cmp_gt_i32_e32 vcc, s2, v13
	s_and_saveexec_b64 s[0:1], vcc
	s_cbranch_execz .LBB9_20
.LBB9_22:
	s_load_dword s6, s[4:5], 0xd4
	v_mov_b32_e32 v16, 1.0
	s_waitcnt lgkmcnt(0)
	s_cmp_lg_u32 s6, 1
	s_cselect_b64 s[0:1], -1, 0
	s_cmp_eq_u32 s6, 1
	s_cselect_b64 s[4:5], -1, 0
	s_and_b64 vcc, exec, s[0:1]
	s_cbranch_vccnz .LBB9_24
; %bb.23:
	v_div_scale_f32 v16, s[8:9], v5, v5, 1.0
	v_div_scale_f32 v17, vcc, 1.0, v5, 1.0
	v_rcp_f32_e32 v18, v16
	v_fma_f32 v19, -v16, v18, 1.0
	v_fmac_f32_e32 v18, v19, v18
	v_mul_f32_e32 v19, v17, v18
	v_fma_f32 v20, -v16, v19, v17
	v_fmac_f32_e32 v19, v20, v18
	v_fma_f32 v16, -v16, v19, v17
	v_div_fmas_f32 v16, v16, v18, v19
	v_div_fixup_f32 v16, v16, v5, 1.0
.LBB9_24:
	s_mul_i32 s30, s30, s2
	v_add_u32_e32 v5, s30, v13
	v_mul_lo_u32 v5, v5, s3
	v_cmp_eq_u32_e32 vcc, 0, v0
	v_cvt_f32_f16_e32 v0, v35
	v_mov_b32_e32 v22, 0
	v_add3_u32 v5, s25, v14, v5
	v_mul_lo_u32 v5, s6, v5
	v_cvt_f32_f16_sdwa v14, v35 dst_sel:DWORD dst_unused:UNUSED_PAD src0_sel:WORD_1
	v_cvt_f32_f16_e32 v19, v40
	s_and_b64 s[2:3], vcc, s[0:1]
	v_add_u32_e32 v13, s7, v5
	v_lshl_add_u32 v21, v13, 7, v15
	v_cvt_f32_f16_sdwa v5, v40 dst_sel:DWORD dst_unused:UNUSED_PAD src0_sel:WORD_1
	v_lshlrev_b64 v[21:22], 2, v[21:22]
	v_mul_f32_e32 v17, v16, v0
	v_mov_b32_e32 v0, s21
	v_add_co_u32_e32 v21, vcc, s20, v21
	v_mul_f32_e32 v18, v16, v14
	v_mul_f32_e32 v19, v16, v19
	;; [unrolled: 1-line block ×3, first 2 shown]
	v_addc_co_u32_e32 v22, vcc, v0, v22, vcc
	global_store_dwordx4 v[21:22], v[17:20], off
	s_and_saveexec_b64 s[0:1], s[2:3]
	s_cbranch_execz .LBB9_26
; %bb.25:
	v_ashrrev_i32_e32 v14, 31, v13
	v_lshlrev_b64 v[16:17], 3, v[13:14]
	v_mov_b32_e32 v0, s23
	v_add_co_u32_e32 v16, vcc, s22, v16
	v_addc_co_u32_e32 v17, vcc, v0, v17, vcc
	v_mov_b32_e32 v0, v1
	v_mov_b32_e32 v1, v9
	global_store_dwordx2 v[16:17], v[0:1], off
.LBB9_26:
	s_or_b64 exec, exec, s[0:1]
	v_cndmask_b32_e64 v0, 0, 1, s[4:5]
	v_cmp_ne_u32_e64 s[0:1], 1, v0
	s_andn2_b64 vcc, exec, s[4:5]
	v_mov_b32_e32 v1, 1.0
	s_cbranch_vccnz .LBB9_28
; %bb.27:
	v_div_scale_f32 v0, s[4:5], v6, v6, 1.0
	v_div_scale_f32 v1, vcc, 1.0, v6, 1.0
	v_rcp_f32_e32 v5, v0
	v_fma_f32 v9, -v0, v5, 1.0
	v_fmac_f32_e32 v5, v9, v5
	v_mul_f32_e32 v9, v1, v5
	v_fma_f32 v14, -v0, v9, v1
	v_fmac_f32_e32 v9, v14, v5
	v_fma_f32 v0, -v0, v9, v1
	v_div_fmas_f32 v0, v0, v5, v9
	v_div_fixup_f32 v1, v0, v6, 1.0
.LBB9_28:
	v_add_u32_e32 v0, s6, v13
	v_cvt_f32_f16_e32 v9, v34
	v_cvt_f32_f16_sdwa v13, v34 dst_sel:DWORD dst_unused:UNUSED_PAD src0_sel:WORD_1
	v_cvt_f32_f16_e32 v14, v39
	v_cvt_f32_f16_sdwa v19, v39 dst_sel:DWORD dst_unused:UNUSED_PAD src0_sel:WORD_1
	v_lshl_add_u32 v5, v0, 7, v15
	v_mov_b32_e32 v6, 0
	v_lshlrev_b64 v[5:6], 2, v[5:6]
	v_mul_f32_e32 v16, v1, v9
	v_mul_f32_e32 v17, v1, v13
	;; [unrolled: 1-line block ×4, first 2 shown]
	v_mov_b32_e32 v1, s21
	v_add_co_u32_e32 v5, vcc, s20, v5
	v_addc_co_u32_e32 v6, vcc, v1, v6, vcc
	global_store_dwordx4 v[5:6], v[16:19], off
	s_and_saveexec_b64 s[4:5], s[2:3]
	s_cbranch_execz .LBB9_30
; %bb.29:
	v_ashrrev_i32_e32 v1, 31, v0
	v_lshlrev_b64 v[5:6], 3, v[0:1]
	v_mov_b32_e32 v1, s23
	v_add_co_u32_e32 v5, vcc, s22, v5
	v_addc_co_u32_e32 v6, vcc, v1, v6, vcc
	v_mov_b32_e32 v9, v2
	global_store_dwordx2 v[5:6], v[9:10], off
.LBB9_30:
	s_or_b64 exec, exec, s[4:5]
	s_and_b64 vcc, exec, s[0:1]
	v_mov_b32_e32 v1, 1.0
	s_cbranch_vccnz .LBB9_32
; %bb.31:
	v_div_scale_f32 v1, s[4:5], v7, v7, 1.0
	v_div_scale_f32 v2, vcc, 1.0, v7, 1.0
	v_rcp_f32_e32 v5, v1
	v_fma_f32 v6, -v1, v5, 1.0
	v_fmac_f32_e32 v5, v6, v5
	v_mul_f32_e32 v6, v2, v5
	v_fma_f32 v9, -v1, v6, v2
	v_fmac_f32_e32 v6, v9, v5
	v_fma_f32 v1, -v1, v6, v2
	v_div_fmas_f32 v1, v1, v5, v6
	v_div_fixup_f32 v1, v1, v7, 1.0
.LBB9_32:
	v_cvt_f32_f16_e32 v2, v33
	v_cvt_f32_f16_sdwa v7, v33 dst_sel:DWORD dst_unused:UNUSED_PAD src0_sel:WORD_1
	v_cvt_f32_f16_e32 v9, v38
	v_cvt_f32_f16_sdwa v10, v38 dst_sel:DWORD dst_unused:UNUSED_PAD src0_sel:WORD_1
	v_add_u32_e32 v0, s6, v0
	v_lshl_add_u32 v5, v0, 7, v15
	v_mov_b32_e32 v6, 0
	v_mul_f32_e32 v16, v1, v2
	v_mul_f32_e32 v17, v1, v7
	;; [unrolled: 1-line block ×4, first 2 shown]
	v_lshlrev_b64 v[1:2], 2, v[5:6]
	v_mov_b32_e32 v5, s21
	v_add_co_u32_e32 v1, vcc, s20, v1
	v_addc_co_u32_e32 v2, vcc, v5, v2, vcc
	global_store_dwordx4 v[1:2], v[16:19], off
	s_and_saveexec_b64 s[4:5], s[2:3]
	s_cbranch_execz .LBB9_34
; %bb.33:
	v_ashrrev_i32_e32 v1, 31, v0
	v_lshlrev_b64 v[1:2], 3, v[0:1]
	v_mov_b32_e32 v5, s23
	v_add_co_u32_e32 v1, vcc, s22, v1
	v_addc_co_u32_e32 v2, vcc, v5, v2, vcc
	v_mov_b32_e32 v10, v3
	global_store_dwordx2 v[1:2], v[10:11], off
.LBB9_34:
	s_or_b64 exec, exec, s[4:5]
	s_and_b64 vcc, exec, s[0:1]
	v_mov_b32_e32 v1, 1.0
	s_cbranch_vccnz .LBB9_36
; %bb.35:
	v_div_scale_f32 v1, s[0:1], v8, v8, 1.0
	v_div_scale_f32 v2, vcc, 1.0, v8, 1.0
	v_rcp_f32_e32 v3, v1
	v_fma_f32 v5, -v1, v3, 1.0
	v_fmac_f32_e32 v3, v5, v3
	v_mul_f32_e32 v5, v2, v3
	v_fma_f32 v6, -v1, v5, v2
	v_fmac_f32_e32 v5, v6, v3
	v_fma_f32 v1, -v1, v5, v2
	v_div_fmas_f32 v1, v1, v3, v5
	v_div_fixup_f32 v1, v1, v8, 1.0
.LBB9_36:
	v_cvt_f32_f16_e32 v5, v37
	v_cvt_f32_f16_sdwa v6, v37 dst_sel:DWORD dst_unused:UNUSED_PAD src0_sel:WORD_1
	v_cvt_f32_f16_e32 v7, v36
	v_cvt_f32_f16_sdwa v8, v36 dst_sel:DWORD dst_unused:UNUSED_PAD src0_sel:WORD_1
	v_add_u32_e32 v0, s6, v0
	v_lshl_add_u32 v2, v0, 7, v15
	v_mov_b32_e32 v3, 0
	v_mul_f32_e32 v5, v1, v5
	v_mul_f32_e32 v6, v1, v6
	;; [unrolled: 1-line block ×4, first 2 shown]
	v_lshlrev_b64 v[1:2], 2, v[2:3]
	v_mov_b32_e32 v3, s21
	v_add_co_u32_e32 v1, vcc, s20, v1
	v_addc_co_u32_e32 v2, vcc, v3, v2, vcc
	global_store_dwordx4 v[1:2], v[5:8], off
	s_and_b64 exec, exec, s[2:3]
	s_cbranch_execz .LBB9_20
; %bb.37:
	v_ashrrev_i32_e32 v1, 31, v0
	v_lshlrev_b64 v[0:1], 3, v[0:1]
	v_mov_b32_e32 v2, s23
	v_add_co_u32_e32 v0, vcc, s22, v0
	v_addc_co_u32_e32 v1, vcc, v2, v1, vcc
	v_mov_b32_e32 v11, v4
	global_store_dwordx2 v[0:1], v[11:12], off
	s_endpgm
	.section	.rodata,"a",@progbits
	.p2align	6, 0x0
	.amdhsa_kernel _ZL15flash_attn_tileILi192ELi128ELi4ELi8ELb0EEvPKcS1_S1_S1_S1_PKiPfP15HIP_vector_typeIfLj2EEffffjfiS5_IjLj3EEiiiiiiiiiiiliiliiiiil
		.amdhsa_group_segment_fixed_size 18944
		.amdhsa_private_segment_fixed_size 0
		.amdhsa_kernarg_size 464
		.amdhsa_user_sgpr_count 6
		.amdhsa_user_sgpr_private_segment_buffer 1
		.amdhsa_user_sgpr_dispatch_ptr 0
		.amdhsa_user_sgpr_queue_ptr 0
		.amdhsa_user_sgpr_kernarg_segment_ptr 1
		.amdhsa_user_sgpr_dispatch_id 0
		.amdhsa_user_sgpr_flat_scratch_init 0
		.amdhsa_user_sgpr_private_segment_size 0
		.amdhsa_uses_dynamic_stack 0
		.amdhsa_system_sgpr_private_segment_wavefront_offset 0
		.amdhsa_system_sgpr_workgroup_id_x 1
		.amdhsa_system_sgpr_workgroup_id_y 1
		.amdhsa_system_sgpr_workgroup_id_z 1
		.amdhsa_system_sgpr_workgroup_info 0
		.amdhsa_system_vgpr_workitem_id 1
		.amdhsa_next_free_vgpr 68
		.amdhsa_next_free_sgpr 98
		.amdhsa_reserve_vcc 1
		.amdhsa_reserve_flat_scratch 0
		.amdhsa_float_round_mode_32 0
		.amdhsa_float_round_mode_16_64 0
		.amdhsa_float_denorm_mode_32 3
		.amdhsa_float_denorm_mode_16_64 3
		.amdhsa_dx10_clamp 1
		.amdhsa_ieee_mode 1
		.amdhsa_fp16_overflow 0
		.amdhsa_exception_fp_ieee_invalid_op 0
		.amdhsa_exception_fp_denorm_src 0
		.amdhsa_exception_fp_ieee_div_zero 0
		.amdhsa_exception_fp_ieee_overflow 0
		.amdhsa_exception_fp_ieee_underflow 0
		.amdhsa_exception_fp_ieee_inexact 0
		.amdhsa_exception_int_div_zero 0
	.end_amdhsa_kernel
	.section	.text._ZL15flash_attn_tileILi192ELi128ELi4ELi8ELb0EEvPKcS1_S1_S1_S1_PKiPfP15HIP_vector_typeIfLj2EEffffjfiS5_IjLj3EEiiiiiiiiiiiliiliiiiil,"axG",@progbits,_ZL15flash_attn_tileILi192ELi128ELi4ELi8ELb0EEvPKcS1_S1_S1_S1_PKiPfP15HIP_vector_typeIfLj2EEffffjfiS5_IjLj3EEiiiiiiiiiiiliiliiiiil,comdat
.Lfunc_end9:
	.size	_ZL15flash_attn_tileILi192ELi128ELi4ELi8ELb0EEvPKcS1_S1_S1_S1_PKiPfP15HIP_vector_typeIfLj2EEffffjfiS5_IjLj3EEiiiiiiiiiiiliiliiiiil, .Lfunc_end9-_ZL15flash_attn_tileILi192ELi128ELi4ELi8ELb0EEvPKcS1_S1_S1_S1_PKiPfP15HIP_vector_typeIfLj2EEffffjfiS5_IjLj3EEiiiiiiiiiiiliiliiiiil
                                        ; -- End function
	.set _ZL15flash_attn_tileILi192ELi128ELi4ELi8ELb0EEvPKcS1_S1_S1_S1_PKiPfP15HIP_vector_typeIfLj2EEffffjfiS5_IjLj3EEiiiiiiiiiiiliiliiiiil.num_vgpr, 68
	.set _ZL15flash_attn_tileILi192ELi128ELi4ELi8ELb0EEvPKcS1_S1_S1_S1_PKiPfP15HIP_vector_typeIfLj2EEffffjfiS5_IjLj3EEiiiiiiiiiiiliiliiiiil.num_agpr, 0
	.set _ZL15flash_attn_tileILi192ELi128ELi4ELi8ELb0EEvPKcS1_S1_S1_S1_PKiPfP15HIP_vector_typeIfLj2EEffffjfiS5_IjLj3EEiiiiiiiiiiiliiliiiiil.numbered_sgpr, 40
	.set _ZL15flash_attn_tileILi192ELi128ELi4ELi8ELb0EEvPKcS1_S1_S1_S1_PKiPfP15HIP_vector_typeIfLj2EEffffjfiS5_IjLj3EEiiiiiiiiiiiliiliiiiil.num_named_barrier, 0
	.set _ZL15flash_attn_tileILi192ELi128ELi4ELi8ELb0EEvPKcS1_S1_S1_S1_PKiPfP15HIP_vector_typeIfLj2EEffffjfiS5_IjLj3EEiiiiiiiiiiiliiliiiiil.private_seg_size, 0
	.set _ZL15flash_attn_tileILi192ELi128ELi4ELi8ELb0EEvPKcS1_S1_S1_S1_PKiPfP15HIP_vector_typeIfLj2EEffffjfiS5_IjLj3EEiiiiiiiiiiiliiliiiiil.uses_vcc, 1
	.set _ZL15flash_attn_tileILi192ELi128ELi4ELi8ELb0EEvPKcS1_S1_S1_S1_PKiPfP15HIP_vector_typeIfLj2EEffffjfiS5_IjLj3EEiiiiiiiiiiiliiliiiiil.uses_flat_scratch, 0
	.set _ZL15flash_attn_tileILi192ELi128ELi4ELi8ELb0EEvPKcS1_S1_S1_S1_PKiPfP15HIP_vector_typeIfLj2EEffffjfiS5_IjLj3EEiiiiiiiiiiiliiliiiiil.has_dyn_sized_stack, 0
	.set _ZL15flash_attn_tileILi192ELi128ELi4ELi8ELb0EEvPKcS1_S1_S1_S1_PKiPfP15HIP_vector_typeIfLj2EEffffjfiS5_IjLj3EEiiiiiiiiiiiliiliiiiil.has_recursion, 0
	.set _ZL15flash_attn_tileILi192ELi128ELi4ELi8ELb0EEvPKcS1_S1_S1_S1_PKiPfP15HIP_vector_typeIfLj2EEffffjfiS5_IjLj3EEiiiiiiiiiiiliiliiiiil.has_indirect_call, 0
	.section	.AMDGPU.csdata,"",@progbits
; Kernel info:
; codeLenInByte = 14232
; TotalNumSgprs: 44
; NumVgprs: 68
; ScratchSize: 0
; MemoryBound: 0
; FloatMode: 240
; IeeeMode: 1
; LDSByteSize: 18944 bytes/workgroup (compile time only)
; SGPRBlocks: 12
; VGPRBlocks: 16
; NumSGPRsForWavesPerEU: 102
; NumVGPRsForWavesPerEU: 68
; Occupancy: 3
; WaveLimiterHint : 1
; COMPUTE_PGM_RSRC2:SCRATCH_EN: 0
; COMPUTE_PGM_RSRC2:USER_SGPR: 6
; COMPUTE_PGM_RSRC2:TRAP_HANDLER: 0
; COMPUTE_PGM_RSRC2:TGID_X_EN: 1
; COMPUTE_PGM_RSRC2:TGID_Y_EN: 1
; COMPUTE_PGM_RSRC2:TGID_Z_EN: 1
; COMPUTE_PGM_RSRC2:TIDIG_COMP_CNT: 1
	.section	.text._ZL25flash_attn_mask_to_KV_maxILi4EEvPK7__half2Piiii,"axG",@progbits,_ZL25flash_attn_mask_to_KV_maxILi4EEvPK7__half2Piiii,comdat
	.globl	_ZL25flash_attn_mask_to_KV_maxILi4EEvPK7__half2Piiii ; -- Begin function _ZL25flash_attn_mask_to_KV_maxILi4EEvPK7__half2Piiii
	.p2align	8
	.type	_ZL25flash_attn_mask_to_KV_maxILi4EEvPK7__half2Piiii,@function
_ZL25flash_attn_mask_to_KV_maxILi4EEvPK7__half2Piiii: ; @_ZL25flash_attn_mask_to_KV_maxILi4EEvPK7__half2Piiii
; %bb.0:
	s_load_dwordx4 s[8:11], s[4:5], 0x0
	v_cmp_gt_u32_e32 vcc, 32, v0
	s_and_saveexec_b64 s[0:1], vcc
; %bb.1:
	v_lshlrev_b32_e32 v1, 2, v0
	v_mov_b32_e32 v2, 1
	ds_write_b32 v1, v2
; %bb.2:
	s_or_b64 exec, exec, s[0:1]
	s_load_dwordx4 s[12:15], s[4:5], 0x10
	s_load_dword s22, s[4:5], 0x20
	v_and_b32_e32 v1, 31, v0
	v_lshlrev_b32_e32 v6, 2, v1
	v_lshrrev_b32_e32 v5, 3, v0
	s_waitcnt lgkmcnt(0)
	s_mul_i32 s1, s6, s13
	s_mul_i32 s0, s14, s7
	s_lshl_b32 s1, s1, 2
	s_add_i32 s0, s0, s1
	s_ashr_i32 s1, s0, 31
	s_lshl_b64 s[0:1], s[0:1], 2
	s_add_u32 s23, s8, s0
	s_addc_u32 s24, s9, s1
	v_cmp_eq_u32_e64 s[0:1], 0, v1
	v_mbcnt_lo_u32_b32 v1, -1, 0
	s_lshl_b32 s12, s12, 8
	s_mov_b64 s[4:5], 0
	v_mov_b32_e32 v2, 0
	s_movk_i32 s25, 0x204
	v_mbcnt_hi_u32_b32 v7, -1, v1
	s_barrier
                                        ; implicit-def: $sgpr2_sgpr3
	s_branch .LBB10_5
.LBB10_3:                               ;   in Loop: Header=BB10_5 Depth=1
	s_or_b64 exec, exec, s[8:9]
	s_waitcnt lgkmcnt(0)
	s_barrier
	ds_read_b32 v10, v6
	s_waitcnt lgkmcnt(0)
	s_barrier
	ds_bpermute_b32 v1, v1, v10
	v_cmp_ne_u32_e32 vcc, 0, v10
	s_waitcnt lgkmcnt(0)
	v_cmp_ne_u32_e64 s[2:3], 0, v1
	s_and_b64 s[2:3], vcc, s[2:3]
	v_cndmask_b32_e64 v1, 0, 1, s[2:3]
	ds_bpermute_b32 v1, v3, v1
	s_waitcnt lgkmcnt(0)
	v_cmp_ne_u32_e32 vcc, 0, v1
	s_and_b64 s[2:3], vcc, s[2:3]
	v_cndmask_b32_e64 v1, 0, 1, s[2:3]
	ds_bpermute_b32 v1, v4, v1
	s_waitcnt lgkmcnt(0)
	v_cmp_ne_u32_e32 vcc, 0, v1
	;; [unrolled: 5-line block ×3, first 2 shown]
	s_and_b64 s[2:3], vcc, s[2:3]
	v_cndmask_b32_e64 v1, 0, 1, s[2:3]
	ds_bpermute_b32 v1, v9, v1
	s_xor_b64 s[2:3], s[2:3], -1
	s_waitcnt lgkmcnt(0)
	v_cmp_eq_u32_e32 vcc, 0, v1
	s_or_b64 s[2:3], vcc, s[2:3]
.LBB10_4:                               ;   in Loop: Header=BB10_5 Depth=1
	s_and_b64 s[8:9], exec, s[2:3]
	s_or_b64 s[4:5], s[8:9], s[4:5]
	v_mov_b32_e32 v1, s12
	s_mov_b32 s12, s26
	s_andn2_b64 exec, exec, s[4:5]
	s_cbranch_execz .LBB10_20
.LBB10_5:                               ; =>This Inner Loop Header: Depth=1
	s_add_i32 s26, s12, 0xffffff00
	s_or_b64 s[2:3], s[2:3], exec
	s_cmp_lt_i32 s26, 0
	s_cbranch_scc1 .LBB10_4
; %bb.6:                                ;   in Loop: Header=BB10_5 Depth=1
	s_lshr_b32 s2, s26, 1
	v_add_u32_e32 v1, s2, v0
	v_lshlrev_b64 v[3:4], 2, v[1:2]
	v_mov_b32_e32 v8, s24
	v_add_co_u32_e32 v3, vcc, s23, v3
	v_addc_co_u32_e32 v4, vcc, v8, v4, vcc
	global_load_dword v3, v[3:4], off
	v_mov_b32_e32 v4, 0
	s_waitcnt vmcnt(0)
	v_cmp_class_f16_e64 s[2:3], v3, s25
	v_cmp_class_f16_sdwa s[8:9], v3, s25 src0_sel:WORD_1 src1_sel:DWORD
	s_and_b64 s[8:9], s[2:3], s[8:9]
	s_and_saveexec_b64 s[2:3], s[8:9]
	s_cbranch_execz .LBB10_18
; %bb.7:                                ;   in Loop: Header=BB10_5 Depth=1
	v_add_u32_e32 v3, s13, v1
	v_ashrrev_i32_e32 v4, 31, v3
	v_lshlrev_b64 v[8:9], 2, v[3:4]
	v_mov_b32_e32 v1, s24
	v_add_co_u32_e32 v8, vcc, s23, v8
	v_addc_co_u32_e32 v9, vcc, v1, v9, vcc
	global_load_dword v1, v[8:9], off
	v_mov_b32_e32 v4, 0
	s_waitcnt vmcnt(0)
	v_cmp_class_f16_e64 s[14:15], v1, s25
	s_and_saveexec_b64 s[8:9], s[14:15]
	s_cbranch_execz .LBB10_17
; %bb.8:                                ;   in Loop: Header=BB10_5 Depth=1
	v_cmp_class_f16_sdwa s[16:17], v1, s25 src0_sel:WORD_1 src1_sel:DWORD
	v_mov_b32_e32 v4, 0
	s_and_saveexec_b64 s[14:15], s[16:17]
	s_cbranch_execz .LBB10_16
; %bb.9:                                ;   in Loop: Header=BB10_5 Depth=1
	v_add_u32_e32 v3, s13, v3
	v_ashrrev_i32_e32 v4, 31, v3
	v_lshlrev_b64 v[8:9], 2, v[3:4]
	v_mov_b32_e32 v1, s24
	v_add_co_u32_e32 v8, vcc, s23, v8
	v_addc_co_u32_e32 v9, vcc, v1, v9, vcc
	global_load_dword v1, v[8:9], off
	v_mov_b32_e32 v4, 0
	s_waitcnt vmcnt(0)
	v_cmp_class_f16_e64 s[18:19], v1, s25
	s_and_saveexec_b64 s[16:17], s[18:19]
	s_cbranch_execz .LBB10_15
; %bb.10:                               ;   in Loop: Header=BB10_5 Depth=1
	v_cmp_class_f16_sdwa s[20:21], v1, s25 src0_sel:WORD_1 src1_sel:DWORD
	v_mov_b32_e32 v4, 0
	s_and_saveexec_b64 s[18:19], s[20:21]
	s_cbranch_execz .LBB10_14
; %bb.11:                               ;   in Loop: Header=BB10_5 Depth=1
	v_add_u32_e32 v3, s13, v3
	v_ashrrev_i32_e32 v4, 31, v3
	v_lshlrev_b64 v[3:4], 2, v[3:4]
	v_mov_b32_e32 v1, s24
	v_add_co_u32_e32 v3, vcc, s23, v3
	v_addc_co_u32_e32 v4, vcc, v1, v4, vcc
	global_load_dword v1, v[3:4], off
	v_mov_b32_e32 v4, 0
	s_waitcnt vmcnt(0)
	v_cmp_class_f16_e64 s[28:29], v1, s25
	s_and_saveexec_b64 s[20:21], s[28:29]
; %bb.12:                               ;   in Loop: Header=BB10_5 Depth=1
	v_cmp_class_f16_sdwa s[28:29], v1, s25 src0_sel:WORD_1 src1_sel:DWORD
	v_cndmask_b32_e64 v4, 0, 1, s[28:29]
; %bb.13:                               ;   in Loop: Header=BB10_5 Depth=1
	s_or_b64 exec, exec, s[20:21]
.LBB10_14:                              ;   in Loop: Header=BB10_5 Depth=1
	s_or_b64 exec, exec, s[18:19]
.LBB10_15:                              ;   in Loop: Header=BB10_5 Depth=1
	s_or_b64 exec, exec, s[16:17]
.LBB10_16:                              ;   in Loop: Header=BB10_5 Depth=1
	s_or_b64 exec, exec, s[14:15]
.LBB10_17:                              ;   in Loop: Header=BB10_5 Depth=1
	s_or_b64 exec, exec, s[8:9]
.LBB10_18:                              ;   in Loop: Header=BB10_5 Depth=1
	s_or_b64 exec, exec, s[2:3]
	v_and_b32_e32 v1, 0x60, v7
	v_add_u32_e32 v9, 32, v1
	v_xor_b32_e32 v1, 16, v7
	v_cmp_lt_i32_e32 vcc, v1, v9
	v_cndmask_b32_e32 v1, v7, v1, vcc
	v_lshlrev_b32_e32 v1, 2, v1
	ds_bpermute_b32 v3, v1, v4
	v_cmp_ne_u32_e32 vcc, 0, v4
	v_xor_b32_e32 v11, 1, v7
	s_waitcnt lgkmcnt(0)
	v_cmp_ne_u32_e64 s[2:3], 0, v3
	v_xor_b32_e32 v3, 8, v7
	s_and_b64 s[2:3], vcc, s[2:3]
	v_cmp_lt_i32_e32 vcc, v3, v9
	v_cndmask_b32_e32 v3, v7, v3, vcc
	v_cndmask_b32_e64 v4, 0, 1, s[2:3]
	v_lshlrev_b32_e32 v3, 2, v3
	ds_bpermute_b32 v4, v3, v4
	s_waitcnt lgkmcnt(0)
	v_cmp_ne_u32_e32 vcc, 0, v4
	v_xor_b32_e32 v4, 4, v7
	s_and_b64 s[2:3], vcc, s[2:3]
	v_cmp_lt_i32_e32 vcc, v4, v9
	v_cndmask_b32_e32 v4, v7, v4, vcc
	v_cndmask_b32_e64 v8, 0, 1, s[2:3]
	v_lshlrev_b32_e32 v4, 2, v4
	ds_bpermute_b32 v8, v4, v8
	s_waitcnt lgkmcnt(0)
	v_cmp_ne_u32_e32 vcc, 0, v8
	;; [unrolled: 9-line block ×3, first 2 shown]
	s_and_b64 s[2:3], vcc, s[2:3]
	v_cmp_lt_i32_e32 vcc, v11, v9
	v_cndmask_b32_e32 v9, v7, v11, vcc
	v_cndmask_b32_e64 v10, 0, 1, s[2:3]
	v_lshlrev_b32_e32 v9, 2, v9
	ds_bpermute_b32 v10, v9, v10
	s_and_saveexec_b64 s[8:9], s[0:1]
	s_cbranch_execz .LBB10_3
; %bb.19:                               ;   in Loop: Header=BB10_5 Depth=1
	s_waitcnt lgkmcnt(0)
	v_cmp_ne_u32_e32 vcc, 0, v10
	s_and_b64 s[2:3], vcc, s[2:3]
	v_cndmask_b32_e64 v10, 0, 1, s[2:3]
	ds_write_b32 v5, v10
	s_branch .LBB10_3
.LBB10_20:
	s_or_b64 exec, exec, s[4:5]
	v_cmp_eq_u32_e32 vcc, 0, v0
	s_and_saveexec_b64 s[0:1], vcc
	s_cbranch_execz .LBB10_22
; %bb.21:
	s_mul_i32 s0, s22, s7
	s_add_i32 s0, s0, s6
	s_ashr_i32 s1, s0, 31
	s_lshl_b64 s[0:1], s[0:1], 2
	s_add_u32 s0, s10, s0
	s_addc_u32 s1, s11, s1
	v_mov_b32_e32 v0, 0
	global_store_dword v0, v1, s[0:1]
.LBB10_22:
	s_endpgm
	.section	.rodata,"a",@progbits
	.p2align	6, 0x0
	.amdhsa_kernel _ZL25flash_attn_mask_to_KV_maxILi4EEvPK7__half2Piiii
		.amdhsa_group_segment_fixed_size 128
		.amdhsa_private_segment_fixed_size 0
		.amdhsa_kernarg_size 288
		.amdhsa_user_sgpr_count 6
		.amdhsa_user_sgpr_private_segment_buffer 1
		.amdhsa_user_sgpr_dispatch_ptr 0
		.amdhsa_user_sgpr_queue_ptr 0
		.amdhsa_user_sgpr_kernarg_segment_ptr 1
		.amdhsa_user_sgpr_dispatch_id 0
		.amdhsa_user_sgpr_flat_scratch_init 0
		.amdhsa_user_sgpr_private_segment_size 0
		.amdhsa_uses_dynamic_stack 0
		.amdhsa_system_sgpr_private_segment_wavefront_offset 0
		.amdhsa_system_sgpr_workgroup_id_x 1
		.amdhsa_system_sgpr_workgroup_id_y 1
		.amdhsa_system_sgpr_workgroup_id_z 0
		.amdhsa_system_sgpr_workgroup_info 0
		.amdhsa_system_vgpr_workitem_id 0
		.amdhsa_next_free_vgpr 12
		.amdhsa_next_free_sgpr 30
		.amdhsa_reserve_vcc 1
		.amdhsa_reserve_flat_scratch 0
		.amdhsa_float_round_mode_32 0
		.amdhsa_float_round_mode_16_64 0
		.amdhsa_float_denorm_mode_32 3
		.amdhsa_float_denorm_mode_16_64 3
		.amdhsa_dx10_clamp 1
		.amdhsa_ieee_mode 1
		.amdhsa_fp16_overflow 0
		.amdhsa_exception_fp_ieee_invalid_op 0
		.amdhsa_exception_fp_denorm_src 0
		.amdhsa_exception_fp_ieee_div_zero 0
		.amdhsa_exception_fp_ieee_overflow 0
		.amdhsa_exception_fp_ieee_underflow 0
		.amdhsa_exception_fp_ieee_inexact 0
		.amdhsa_exception_int_div_zero 0
	.end_amdhsa_kernel
	.section	.text._ZL25flash_attn_mask_to_KV_maxILi4EEvPK7__half2Piiii,"axG",@progbits,_ZL25flash_attn_mask_to_KV_maxILi4EEvPK7__half2Piiii,comdat
.Lfunc_end10:
	.size	_ZL25flash_attn_mask_to_KV_maxILi4EEvPK7__half2Piiii, .Lfunc_end10-_ZL25flash_attn_mask_to_KV_maxILi4EEvPK7__half2Piiii
                                        ; -- End function
	.set _ZL25flash_attn_mask_to_KV_maxILi4EEvPK7__half2Piiii.num_vgpr, 12
	.set _ZL25flash_attn_mask_to_KV_maxILi4EEvPK7__half2Piiii.num_agpr, 0
	.set _ZL25flash_attn_mask_to_KV_maxILi4EEvPK7__half2Piiii.numbered_sgpr, 30
	.set _ZL25flash_attn_mask_to_KV_maxILi4EEvPK7__half2Piiii.num_named_barrier, 0
	.set _ZL25flash_attn_mask_to_KV_maxILi4EEvPK7__half2Piiii.private_seg_size, 0
	.set _ZL25flash_attn_mask_to_KV_maxILi4EEvPK7__half2Piiii.uses_vcc, 1
	.set _ZL25flash_attn_mask_to_KV_maxILi4EEvPK7__half2Piiii.uses_flat_scratch, 0
	.set _ZL25flash_attn_mask_to_KV_maxILi4EEvPK7__half2Piiii.has_dyn_sized_stack, 0
	.set _ZL25flash_attn_mask_to_KV_maxILi4EEvPK7__half2Piiii.has_recursion, 0
	.set _ZL25flash_attn_mask_to_KV_maxILi4EEvPK7__half2Piiii.has_indirect_call, 0
	.section	.AMDGPU.csdata,"",@progbits
; Kernel info:
; codeLenInByte = 1008
; TotalNumSgprs: 34
; NumVgprs: 12
; ScratchSize: 0
; MemoryBound: 0
; FloatMode: 240
; IeeeMode: 1
; LDSByteSize: 128 bytes/workgroup (compile time only)
; SGPRBlocks: 4
; VGPRBlocks: 2
; NumSGPRsForWavesPerEU: 34
; NumVGPRsForWavesPerEU: 12
; Occupancy: 10
; WaveLimiterHint : 0
; COMPUTE_PGM_RSRC2:SCRATCH_EN: 0
; COMPUTE_PGM_RSRC2:USER_SGPR: 6
; COMPUTE_PGM_RSRC2:TRAP_HANDLER: 0
; COMPUTE_PGM_RSRC2:TGID_X_EN: 1
; COMPUTE_PGM_RSRC2:TGID_Y_EN: 1
; COMPUTE_PGM_RSRC2:TGID_Z_EN: 0
; COMPUTE_PGM_RSRC2:TIDIG_COMP_CNT: 0
	.section	.text._ZL33flash_attn_stream_k_fixup_uniformILi128ELi4ELi8EEvPfPK15HIP_vector_typeIfLj2EEiiiiiiS1_IjLj3EES5_S5_,"axG",@progbits,_ZL33flash_attn_stream_k_fixup_uniformILi128ELi4ELi8EEvPfPK15HIP_vector_typeIfLj2EEiiiiiiS1_IjLj3EES5_S5_,comdat
	.globl	_ZL33flash_attn_stream_k_fixup_uniformILi128ELi4ELi8EEvPfPK15HIP_vector_typeIfLj2EEiiiiiiS1_IjLj3EES5_S5_ ; -- Begin function _ZL33flash_attn_stream_k_fixup_uniformILi128ELi4ELi8EEvPfPK15HIP_vector_typeIfLj2EEiiiiiiS1_IjLj3EES5_S5_
	.p2align	8
	.type	_ZL33flash_attn_stream_k_fixup_uniformILi128ELi4ELi8EEvPfPK15HIP_vector_typeIfLj2EEiiiiiiS1_IjLj3EES5_S5_,@function
_ZL33flash_attn_stream_k_fixup_uniformILi128ELi4ELi8EEvPfPK15HIP_vector_typeIfLj2EEiiiiiiS1_IjLj3EES5_S5_: ; @_ZL33flash_attn_stream_k_fixup_uniformILi128ELi4ELi8EEvPfPK15HIP_vector_typeIfLj2EEiiiiiiS1_IjLj3EES5_S5_
; %bb.0:
	s_load_dwordx8 s[12:19], s[4:5], 0x1c
	s_load_dwordx2 s[10:11], s[4:5], 0x10
	s_load_dwordx4 s[0:3], s[4:5], 0x3c
	s_waitcnt lgkmcnt(0)
	s_mul_hi_u32 s9, s15, s6
	s_add_i32 s9, s6, s9
	s_lshr_b32 s9, s9, s16
	s_mul_i32 s15, s9, s17
	s_sub_i32 s15, s6, s15
	s_mul_hi_u32 s16, s15, s18
	s_add_i32 s16, s15, s16
	s_lshr_b32 s16, s16, s19
	s_mul_i32 s0, s16, s0
	s_sub_i32 s0, s15, s0
	;; [unrolled: 5-line block ×3, first 2 shown]
	s_lshl_b32 s0, s17, 2
	s_lshl_b32 s15, s1, 3
	s_add_i32 s0, s0, s7
	s_cmp_lt_i32 s0, s10
	s_cselect_b64 s[0:1], -1, 0
	s_add_i32 s2, s15, s8
	s_cmp_lt_i32 s2, s13
	s_cselect_b64 s[2:3], -1, 0
	s_and_b64 s[0:1], s[0:1], s[2:3]
	s_andn2_b64 vcc, exec, s[0:1]
	s_cbranch_vccnz .LBB11_6
; %bb.1:
	s_load_dwordx4 s[0:3], s[4:5], 0x0
	s_mul_i32 s4, s9, s10
	s_add_i32 s4, s4, s7
	s_mul_i32 s4, s4, s11
	s_mul_i32 s16, s16, s13
	s_add_i32 s4, s4, s8
	s_add_i32 s4, s4, s16
	s_mul_i32 s5, s11, s17
	s_add_i32 s4, s4, s15
	s_lshl_b32 s5, s5, 9
	s_lshl_b32 s4, s4, 7
	s_add_i32 s5, s5, s4
	v_or_b32_e32 v1, s5, v0
	v_ashrrev_i32_e32 v2, 31, v1
	v_lshlrev_b64 v[1:2], 2, v[1:2]
	s_waitcnt lgkmcnt(0)
	v_mov_b32_e32 v3, s1
	v_add_co_u32_e32 v1, vcc, s0, v1
	v_addc_co_u32_e32 v2, vcc, v3, v2, vcc
	global_load_dword v8, v[1:2], off
	s_mul_i32 s9, s14, s6
	s_lshl_b32 s4, s7, 3
	s_add_i32 s11, s9, s14
	s_add_i32 s0, s4, s8
	s_lshl_b32 s1, s11, 5
	s_add_i32 s0, s0, s1
	s_sub_i32 s0, s0, 32
	s_ashr_i32 s1, s0, 31
	s_lshl_b64 s[0:1], s[0:1], 3
	s_add_u32 s0, s2, s0
	s_addc_u32 s1, s3, s1
	s_load_dword s5, s[0:1], 0x4
	s_add_i32 s10, s11, -2
	s_cmp_lt_i32 s10, s9
	s_cbranch_scc1 .LBB11_4
; %bb.2:
	s_lshl_b32 s16, s12, 7
	s_ashr_i32 s17, s16, 31
	s_lshl_b64 s[16:17], s[16:17], 2
	s_add_u32 s10, s2, s16
	s_addc_u32 s13, s3, s17
	s_add_i32 s6, s6, 1
	s_load_dword s0, s[0:1], 0x0
	s_mul_i32 s1, s14, s6
	s_lshl_b32 s7, s7, 10
	s_lshl_b32 s14, s8, 7
	;; [unrolled: 1-line block ×3, first 2 shown]
	s_add_i32 s7, s14, s7
	s_lshl_b32 s1, s1, 5
	s_add_i32 s7, s7, s6
	s_add_i32 s1, s8, s1
	s_lshl_b32 s6, s12, 5
	s_add_i32 s1, s1, s6
	v_or_b32_e32 v0, s7, v0
	s_add_i32 s1, s1, s4
	s_add_i32 s11, s11, -1
	v_add_u32_e32 v3, 0xffffe000, v0
	s_sub_i32 s4, s1, 64
	s_waitcnt lgkmcnt(0)
	v_mov_b32_e32 v7, s5
	v_mov_b32_e32 v6, s0
	;; [unrolled: 1-line block ×3, first 2 shown]
	s_mov_b32 s6, 0x3fb8aa3b
	s_mov_b32 s7, 0xc2ce8ed0
	;; [unrolled: 1-line block ×3, first 2 shown]
	v_mov_b32_e32 v5, 0x7f800000
	s_mov_b32 s12, 0xc1a00000
.LBB11_3:                               ; =>This Inner Loop Header: Depth=1
	v_ashrrev_i32_e32 v4, 31, v3
	v_lshlrev_b64 v[9:10], 2, v[3:4]
	s_ashr_i32 s5, s4, 31
	v_add_co_u32_e32 v9, vcc, s10, v9
	v_addc_co_u32_e32 v10, vcc, v0, v10, vcc
	global_load_dword v4, v[9:10], off
	s_lshl_b64 s[0:1], s[4:5], 3
	s_add_u32 s0, s2, s0
	s_addc_u32 s1, s3, s1
	s_load_dwordx2 s[14:15], s[0:1], 0x0
	s_waitcnt vmcnt(1)
	v_mov_b32_e32 v9, v8
	v_max_f32_e32 v8, v6, v6
	v_mov_b32_e32 v10, v7
	s_add_i32 s11, s11, -1
	s_waitcnt lgkmcnt(0)
	v_max_f32_e64 v7, s14, s14
	v_max_f32_e32 v7, v8, v7
	v_sub_f32_e32 v11, s14, v7
	v_sub_f32_e32 v8, v6, v7
	v_mul_f32_e32 v12, 0x3fb8aa3b, v11
	v_mov_b32_e32 v6, v7
	v_mul_f32_e32 v7, 0x3fb8aa3b, v8
	v_fma_f32 v15, v11, s6, -v12
	v_rndne_f32_e32 v16, v12
	v_fma_f32 v13, v8, s6, -v7
	v_rndne_f32_e32 v14, v7
	v_fmac_f32_e32 v15, 0x32a5705f, v11
	v_sub_f32_e32 v12, v12, v16
	v_fmac_f32_e32 v13, 0x32a5705f, v8
	v_sub_f32_e32 v7, v7, v14
	v_add_f32_e32 v12, v12, v15
	v_cvt_i32_f32_e32 v16, v16
	v_add_f32_e32 v7, v7, v13
	v_exp_f32_e32 v12, v12
	v_cvt_i32_f32_e32 v14, v14
	v_exp_f32_e32 v7, v7
	v_cmp_ngt_f32_e32 vcc, s7, v11
	v_ldexp_f32 v12, v12, v16
	v_cmp_ngt_f32_e64 s[0:1], s7, v8
	v_ldexp_f32 v7, v7, v14
	v_cndmask_b32_e32 v12, 0, v12, vcc
	v_cmp_nlt_f32_e32 vcc, s8, v11
	v_cndmask_b32_e64 v7, 0, v7, s[0:1]
	v_cmp_nlt_f32_e64 s[0:1], s8, v8
	v_cndmask_b32_e32 v12, v5, v12, vcc
	v_cmp_le_f32_e32 vcc, s12, v11
	v_cndmask_b32_e64 v7, v5, v7, s[0:1]
	v_cmp_le_f32_e64 s[0:1], s12, v8
	v_cndmask_b32_e32 v8, 0, v12, vcc
	s_sub_i32 s4, s4, 32
	v_cndmask_b32_e64 v11, 0, v7, s[0:1]
	v_mul_f32_e32 v7, s15, v8
	v_add_u32_e32 v3, 0xfffff000, v3
	s_cmp_le_i32 s11, s9
	v_fmac_f32_e32 v7, v10, v11
	s_waitcnt vmcnt(0)
	v_mul_f32_e32 v8, v4, v8
	v_fmac_f32_e32 v8, v9, v11
	s_cbranch_scc0 .LBB11_3
	s_branch .LBB11_5
.LBB11_4:
	s_waitcnt lgkmcnt(0)
	v_mov_b32_e32 v7, s5
.LBB11_5:
	s_waitcnt vmcnt(0)
	v_div_scale_f32 v0, s[0:1], v7, v7, v8
	v_div_scale_f32 v3, vcc, v8, v7, v8
	v_rcp_f32_e32 v4, v0
	v_fma_f32 v5, -v0, v4, 1.0
	v_fmac_f32_e32 v4, v5, v4
	v_mul_f32_e32 v5, v3, v4
	v_fma_f32 v6, -v0, v5, v3
	v_fmac_f32_e32 v5, v6, v4
	v_fma_f32 v0, -v0, v5, v3
	v_div_fmas_f32 v0, v0, v4, v5
	v_div_fixup_f32 v0, v0, v7, v8
	global_store_dword v[1:2], v0, off
.LBB11_6:
	s_endpgm
	.section	.rodata,"a",@progbits
	.p2align	6, 0x0
	.amdhsa_kernel _ZL33flash_attn_stream_k_fixup_uniformILi128ELi4ELi8EEvPfPK15HIP_vector_typeIfLj2EEiiiiiiS1_IjLj3EES5_S5_
		.amdhsa_group_segment_fixed_size 0
		.amdhsa_private_segment_fixed_size 0
		.amdhsa_kernarg_size 76
		.amdhsa_user_sgpr_count 6
		.amdhsa_user_sgpr_private_segment_buffer 1
		.amdhsa_user_sgpr_dispatch_ptr 0
		.amdhsa_user_sgpr_queue_ptr 0
		.amdhsa_user_sgpr_kernarg_segment_ptr 1
		.amdhsa_user_sgpr_dispatch_id 0
		.amdhsa_user_sgpr_flat_scratch_init 0
		.amdhsa_user_sgpr_private_segment_size 0
		.amdhsa_uses_dynamic_stack 0
		.amdhsa_system_sgpr_private_segment_wavefront_offset 0
		.amdhsa_system_sgpr_workgroup_id_x 1
		.amdhsa_system_sgpr_workgroup_id_y 1
		.amdhsa_system_sgpr_workgroup_id_z 1
		.amdhsa_system_sgpr_workgroup_info 0
		.amdhsa_system_vgpr_workitem_id 0
		.amdhsa_next_free_vgpr 17
		.amdhsa_next_free_sgpr 20
		.amdhsa_reserve_vcc 1
		.amdhsa_reserve_flat_scratch 0
		.amdhsa_float_round_mode_32 0
		.amdhsa_float_round_mode_16_64 0
		.amdhsa_float_denorm_mode_32 3
		.amdhsa_float_denorm_mode_16_64 3
		.amdhsa_dx10_clamp 1
		.amdhsa_ieee_mode 1
		.amdhsa_fp16_overflow 0
		.amdhsa_exception_fp_ieee_invalid_op 0
		.amdhsa_exception_fp_denorm_src 0
		.amdhsa_exception_fp_ieee_div_zero 0
		.amdhsa_exception_fp_ieee_overflow 0
		.amdhsa_exception_fp_ieee_underflow 0
		.amdhsa_exception_fp_ieee_inexact 0
		.amdhsa_exception_int_div_zero 0
	.end_amdhsa_kernel
	.section	.text._ZL33flash_attn_stream_k_fixup_uniformILi128ELi4ELi8EEvPfPK15HIP_vector_typeIfLj2EEiiiiiiS1_IjLj3EES5_S5_,"axG",@progbits,_ZL33flash_attn_stream_k_fixup_uniformILi128ELi4ELi8EEvPfPK15HIP_vector_typeIfLj2EEiiiiiiS1_IjLj3EES5_S5_,comdat
.Lfunc_end11:
	.size	_ZL33flash_attn_stream_k_fixup_uniformILi128ELi4ELi8EEvPfPK15HIP_vector_typeIfLj2EEiiiiiiS1_IjLj3EES5_S5_, .Lfunc_end11-_ZL33flash_attn_stream_k_fixup_uniformILi128ELi4ELi8EEvPfPK15HIP_vector_typeIfLj2EEiiiiiiS1_IjLj3EES5_S5_
                                        ; -- End function
	.set _ZL33flash_attn_stream_k_fixup_uniformILi128ELi4ELi8EEvPfPK15HIP_vector_typeIfLj2EEiiiiiiS1_IjLj3EES5_S5_.num_vgpr, 17
	.set _ZL33flash_attn_stream_k_fixup_uniformILi128ELi4ELi8EEvPfPK15HIP_vector_typeIfLj2EEiiiiiiS1_IjLj3EES5_S5_.num_agpr, 0
	.set _ZL33flash_attn_stream_k_fixup_uniformILi128ELi4ELi8EEvPfPK15HIP_vector_typeIfLj2EEiiiiiiS1_IjLj3EES5_S5_.numbered_sgpr, 20
	.set _ZL33flash_attn_stream_k_fixup_uniformILi128ELi4ELi8EEvPfPK15HIP_vector_typeIfLj2EEiiiiiiS1_IjLj3EES5_S5_.num_named_barrier, 0
	.set _ZL33flash_attn_stream_k_fixup_uniformILi128ELi4ELi8EEvPfPK15HIP_vector_typeIfLj2EEiiiiiiS1_IjLj3EES5_S5_.private_seg_size, 0
	.set _ZL33flash_attn_stream_k_fixup_uniformILi128ELi4ELi8EEvPfPK15HIP_vector_typeIfLj2EEiiiiiiS1_IjLj3EES5_S5_.uses_vcc, 1
	.set _ZL33flash_attn_stream_k_fixup_uniformILi128ELi4ELi8EEvPfPK15HIP_vector_typeIfLj2EEiiiiiiS1_IjLj3EES5_S5_.uses_flat_scratch, 0
	.set _ZL33flash_attn_stream_k_fixup_uniformILi128ELi4ELi8EEvPfPK15HIP_vector_typeIfLj2EEiiiiiiS1_IjLj3EES5_S5_.has_dyn_sized_stack, 0
	.set _ZL33flash_attn_stream_k_fixup_uniformILi128ELi4ELi8EEvPfPK15HIP_vector_typeIfLj2EEiiiiiiS1_IjLj3EES5_S5_.has_recursion, 0
	.set _ZL33flash_attn_stream_k_fixup_uniformILi128ELi4ELi8EEvPfPK15HIP_vector_typeIfLj2EEiiiiiiS1_IjLj3EES5_S5_.has_indirect_call, 0
	.section	.AMDGPU.csdata,"",@progbits
; Kernel info:
; codeLenInByte = 856
; TotalNumSgprs: 24
; NumVgprs: 17
; ScratchSize: 0
; MemoryBound: 0
; FloatMode: 240
; IeeeMode: 1
; LDSByteSize: 0 bytes/workgroup (compile time only)
; SGPRBlocks: 2
; VGPRBlocks: 4
; NumSGPRsForWavesPerEU: 24
; NumVGPRsForWavesPerEU: 17
; Occupancy: 10
; WaveLimiterHint : 0
; COMPUTE_PGM_RSRC2:SCRATCH_EN: 0
; COMPUTE_PGM_RSRC2:USER_SGPR: 6
; COMPUTE_PGM_RSRC2:TRAP_HANDLER: 0
; COMPUTE_PGM_RSRC2:TGID_X_EN: 1
; COMPUTE_PGM_RSRC2:TGID_Y_EN: 1
; COMPUTE_PGM_RSRC2:TGID_Z_EN: 1
; COMPUTE_PGM_RSRC2:TIDIG_COMP_CNT: 0
	.section	.text._ZL33flash_attn_stream_k_fixup_generalILi128ELi4ELi8EEvPfPK15HIP_vector_typeIfLj2EEiiiiS1_IjLj3EES5_S5_S5_,"axG",@progbits,_ZL33flash_attn_stream_k_fixup_generalILi128ELi4ELi8EEvPfPK15HIP_vector_typeIfLj2EEiiiiS1_IjLj3EES5_S5_S5_,comdat
	.globl	_ZL33flash_attn_stream_k_fixup_generalILi128ELi4ELi8EEvPfPK15HIP_vector_typeIfLj2EEiiiiS1_IjLj3EES5_S5_S5_ ; -- Begin function _ZL33flash_attn_stream_k_fixup_generalILi128ELi4ELi8EEvPfPK15HIP_vector_typeIfLj2EEiiiiS1_IjLj3EES5_S5_S5_
	.p2align	8
	.type	_ZL33flash_attn_stream_k_fixup_generalILi128ELi4ELi8EEvPfPK15HIP_vector_typeIfLj2EEiiiiS1_IjLj3EES5_S5_S5_,@function
_ZL33flash_attn_stream_k_fixup_generalILi128ELi4ELi8EEvPfPK15HIP_vector_typeIfLj2EEiiiiS1_IjLj3EES5_S5_S5_: ; @_ZL33flash_attn_stream_k_fixup_generalILi128ELi4ELi8EEvPfPK15HIP_vector_typeIfLj2EEiiiiS1_IjLj3EES5_S5_S5_
; %bb.0:
	s_load_dwordx4 s[0:3], s[4:5], 0x10
	s_load_dword s22, s[4:5], 0x50
	s_mov_b32 s12, 0
	s_waitcnt lgkmcnt(0)
	s_mul_hi_i32 s13, s3, s6
	s_cmp_lg_u64 s[12:13], 0
	s_mul_i32 s9, s3, s6
	s_cbranch_scc0 .LBB12_20
; %bb.1:
	s_add_u32 s10, s22, 0
	s_addc_u32 s11, 0, 0
	s_xor_b64 s[10:11], s[10:11], 0
	v_cvt_f32_u32_e32 v1, s10
	v_cvt_f32_u32_e32 v2, s11
	s_sub_u32 s12, 0, s10
	s_subb_u32 s18, 0, s11
	v_madmk_f32 v1, v2, 0x4f800000, v1
	v_rcp_f32_e32 v1, v1
	v_mul_f32_e32 v1, 0x5f7ffffc, v1
	v_mul_f32_e32 v2, 0x2f800000, v1
	v_trunc_f32_e32 v2, v2
	v_madmk_f32 v1, v2, 0xcf800000, v1
	v_cvt_u32_f32_e32 v2, v2
	v_cvt_u32_f32_e32 v1, v1
	v_readfirstlane_b32 s19, v2
	v_readfirstlane_b32 s14, v1
	s_mul_i32 s15, s12, s19
	s_mul_hi_u32 s21, s12, s14
	s_mul_i32 s20, s18, s14
	s_add_i32 s15, s21, s15
	s_add_i32 s15, s15, s20
	s_mul_i32 s23, s12, s14
	s_mul_i32 s21, s14, s15
	s_mul_hi_u32 s24, s14, s23
	s_mul_hi_u32 s20, s14, s15
	s_add_u32 s21, s24, s21
	s_addc_u32 s20, 0, s20
	s_mul_hi_u32 s25, s19, s23
	s_mul_i32 s23, s19, s23
	s_add_u32 s21, s21, s23
	s_mul_hi_u32 s24, s19, s15
	s_addc_u32 s20, s20, s25
	s_addc_u32 s21, s24, 0
	s_mul_i32 s15, s19, s15
	s_add_u32 s15, s20, s15
	s_addc_u32 s20, 0, s21
	s_add_u32 s21, s14, s15
	s_cselect_b64 s[14:15], -1, 0
	s_cmp_lg_u64 s[14:15], 0
	s_addc_u32 s19, s19, s20
	s_mul_i32 s14, s12, s19
	s_mul_hi_u32 s15, s12, s21
	s_add_i32 s14, s15, s14
	s_mul_i32 s18, s18, s21
	s_add_i32 s14, s14, s18
	s_mul_i32 s12, s12, s21
	s_mul_hi_u32 s18, s19, s12
	s_mul_i32 s20, s19, s12
	s_mul_i32 s24, s21, s14
	s_mul_hi_u32 s12, s21, s12
	s_mul_hi_u32 s23, s21, s14
	s_add_u32 s12, s12, s24
	s_addc_u32 s23, 0, s23
	s_add_u32 s12, s12, s20
	s_mul_hi_u32 s15, s19, s14
	s_addc_u32 s12, s23, s18
	s_addc_u32 s15, s15, 0
	s_mul_i32 s14, s19, s14
	s_add_u32 s12, s12, s14
	s_addc_u32 s18, 0, s15
	s_add_u32 s20, s21, s12
	s_cselect_b64 s[14:15], -1, 0
	s_cmp_lg_u64 s[14:15], 0
	s_addc_u32 s18, s19, s18
	s_ashr_i32 s14, s13, 31
	s_add_u32 s12, s9, s14
	s_mov_b32 s15, s14
	s_addc_u32 s13, s13, s14
	s_xor_b64 s[12:13], s[12:13], s[14:15]
	s_mul_i32 s21, s12, s18
	s_mul_hi_u32 s23, s12, s20
	s_mul_hi_u32 s19, s12, s18
	s_add_u32 s21, s23, s21
	s_addc_u32 s19, 0, s19
	s_mul_hi_u32 s24, s13, s20
	s_mul_i32 s20, s13, s20
	s_add_u32 s20, s21, s20
	s_mul_hi_u32 s23, s13, s18
	s_addc_u32 s19, s19, s24
	s_addc_u32 s20, s23, 0
	s_mul_i32 s18, s13, s18
	s_add_u32 s23, s19, s18
	s_addc_u32 s24, 0, s20
	s_mul_i32 s18, s10, s24
	s_mul_hi_u32 s19, s10, s23
	s_add_i32 s18, s19, s18
	s_mul_i32 s19, s11, s23
	s_add_i32 s25, s18, s19
	s_sub_i32 s20, s13, s25
	s_mul_i32 s18, s10, s23
	s_sub_u32 s12, s12, s18
	s_cselect_b64 s[18:19], -1, 0
	s_cmp_lg_u64 s[18:19], 0
	s_subb_u32 s26, s20, s11
	s_sub_u32 s27, s12, s10
	s_cselect_b64 s[20:21], -1, 0
	s_cmp_lg_u64 s[20:21], 0
	s_subb_u32 s20, s26, 0
	s_cmp_ge_u32 s20, s11
	s_cselect_b32 s21, -1, 0
	s_cmp_ge_u32 s27, s10
	s_cselect_b32 s26, -1, 0
	s_cmp_eq_u32 s20, s11
	s_cselect_b32 s20, s26, s21
	s_add_u32 s21, s23, 1
	s_addc_u32 s26, s24, 0
	s_add_u32 s27, s23, 2
	s_addc_u32 s28, s24, 0
	s_cmp_lg_u32 s20, 0
	s_cselect_b32 s20, s27, s21
	s_cselect_b32 s21, s28, s26
	s_cmp_lg_u64 s[18:19], 0
	s_subb_u32 s13, s13, s25
	s_cmp_ge_u32 s13, s11
	s_cselect_b32 s18, -1, 0
	s_cmp_ge_u32 s12, s10
	s_cselect_b32 s10, -1, 0
	s_cmp_eq_u32 s13, s11
	s_cselect_b32 s10, s10, s18
	s_cmp_lg_u32 s10, 0
	s_cselect_b32 s11, s21, s24
	s_cselect_b32 s10, s20, s23
	s_xor_b64 s[12:13], s[14:15], 0
	s_xor_b64 s[10:11], s[10:11], s[12:13]
	s_sub_u32 s10, s10, s12
	s_load_dwordx4 s[12:15], s[4:5], 0x44
	s_cbranch_execnz .LBB12_3
.LBB12_2:
	v_cvt_f32_u32_e32 v1, s22
	s_sub_i32 s10, 0, s22
	v_rcp_iflag_f32_e32 v1, v1
	v_mul_f32_e32 v1, 0x4f7ffffe, v1
	v_cvt_u32_f32_e32 v1, v1
	v_readfirstlane_b32 s11, v1
	s_mul_i32 s10, s10, s11
	s_mul_hi_u32 s10, s11, s10
	s_add_i32 s11, s11, s10
	s_mul_hi_u32 s10, s9, s11
	s_waitcnt lgkmcnt(0)
	s_mul_i32 s15, s10, s22
	s_sub_i32 s9, s9, s15
	s_add_i32 s11, s10, 1
	s_sub_i32 s15, s9, s22
	s_cmp_ge_u32 s9, s22
	s_cselect_b32 s10, s11, s10
	s_cselect_b32 s9, s15, s9
	s_add_i32 s11, s10, 1
	s_cmp_ge_u32 s9, s22
	s_cselect_b32 s10, s11, s10
.LBB12_3:
	s_add_i32 s9, s6, 1
	s_mul_hi_i32 s21, s3, s9
	s_mov_b32 s20, 0
	s_cmp_lg_u64 s[20:21], 0
	s_mul_i32 s9, s3, s9
	s_cbranch_scc0 .LBB12_21
; %bb.4:
	s_add_u32 s16, s22, 0
	s_addc_u32 s17, 0, 0
	s_xor_b64 s[18:19], s[16:17], 0
	v_cvt_f32_u32_e32 v1, s18
	v_cvt_f32_u32_e32 v2, s19
	s_sub_u32 s11, 0, s18
	s_waitcnt lgkmcnt(0)
	s_subb_u32 s15, 0, s19
	v_madmk_f32 v1, v2, 0x4f800000, v1
	v_rcp_f32_e32 v1, v1
	v_mul_f32_e32 v1, 0x5f7ffffc, v1
	v_mul_f32_e32 v2, 0x2f800000, v1
	v_trunc_f32_e32 v2, v2
	v_madmk_f32 v1, v2, 0xcf800000, v1
	v_cvt_u32_f32_e32 v2, v2
	v_cvt_u32_f32_e32 v1, v1
	v_readfirstlane_b32 s20, v2
	v_readfirstlane_b32 s23, v1
	s_mul_i32 s24, s11, s20
	s_mul_hi_u32 s26, s11, s23
	s_mul_i32 s25, s15, s23
	s_add_i32 s24, s26, s24
	s_add_i32 s24, s24, s25
	s_mul_i32 s27, s11, s23
	s_mul_i32 s26, s23, s24
	s_mul_hi_u32 s28, s23, s27
	s_mul_hi_u32 s25, s23, s24
	s_add_u32 s26, s28, s26
	s_addc_u32 s25, 0, s25
	s_mul_hi_u32 s29, s20, s27
	s_mul_i32 s27, s20, s27
	s_add_u32 s26, s26, s27
	s_mul_hi_u32 s28, s20, s24
	s_addc_u32 s25, s25, s29
	s_addc_u32 s26, s28, 0
	s_mul_i32 s24, s20, s24
	s_add_u32 s24, s25, s24
	s_addc_u32 s26, 0, s26
	s_add_u32 s23, s23, s24
	s_cselect_b64 s[24:25], -1, 0
	s_cmp_lg_u64 s[24:25], 0
	s_addc_u32 s20, s20, s26
	s_mul_i32 s24, s11, s20
	s_mul_hi_u32 s25, s11, s23
	s_add_i32 s24, s25, s24
	s_mul_i32 s15, s15, s23
	s_add_i32 s24, s24, s15
	s_mul_i32 s11, s11, s23
	s_mul_hi_u32 s25, s20, s11
	s_mul_i32 s26, s20, s11
	s_mul_i32 s28, s23, s24
	s_mul_hi_u32 s11, s23, s11
	s_mul_hi_u32 s27, s23, s24
	s_add_u32 s11, s11, s28
	s_addc_u32 s27, 0, s27
	s_add_u32 s11, s11, s26
	s_mul_hi_u32 s15, s20, s24
	s_addc_u32 s11, s27, s25
	s_addc_u32 s15, s15, 0
	s_mul_i32 s24, s20, s24
	s_add_u32 s11, s11, s24
	s_addc_u32 s15, 0, s15
	s_add_u32 s11, s23, s11
	s_cselect_b64 s[24:25], -1, 0
	s_cmp_lg_u64 s[24:25], 0
	s_addc_u32 s15, s20, s15
	s_ashr_i32 s24, s21, 31
	s_add_u32 s20, s9, s24
	s_mov_b32 s25, s24
	s_addc_u32 s21, s21, s24
	s_xor_b64 s[20:21], s[20:21], s[24:25]
	s_mul_i32 s26, s20, s15
	s_mul_hi_u32 s27, s20, s11
	s_mul_hi_u32 s23, s20, s15
	s_add_u32 s26, s27, s26
	s_addc_u32 s23, 0, s23
	s_mul_hi_u32 s28, s21, s11
	s_mul_i32 s11, s21, s11
	s_add_u32 s11, s26, s11
	s_mul_hi_u32 s27, s21, s15
	s_addc_u32 s11, s23, s28
	s_addc_u32 s23, s27, 0
	s_mul_i32 s15, s21, s15
	s_add_u32 s11, s11, s15
	s_addc_u32 s15, 0, s23
	s_mul_i32 s23, s18, s15
	s_mul_hi_u32 s26, s18, s11
	s_add_i32 s23, s26, s23
	s_mul_i32 s26, s19, s11
	s_add_i32 s23, s23, s26
	s_sub_i32 s28, s21, s23
	s_mul_i32 s26, s18, s11
	s_sub_u32 s20, s20, s26
	s_cselect_b64 s[26:27], -1, 0
	s_cmp_lg_u64 s[26:27], 0
	s_subb_u32 s30, s28, s19
	s_sub_u32 s31, s20, s18
	s_cselect_b64 s[28:29], -1, 0
	s_cmp_lg_u64 s[28:29], 0
	s_subb_u32 s28, s30, 0
	s_cmp_ge_u32 s28, s19
	s_cselect_b32 s29, -1, 0
	s_cmp_ge_u32 s31, s18
	s_cselect_b32 s30, -1, 0
	s_cmp_eq_u32 s28, s19
	s_cselect_b32 s28, s30, s29
	s_add_u32 s29, s11, 1
	s_addc_u32 s30, s15, 0
	s_add_u32 s31, s11, 2
	s_addc_u32 s33, s15, 0
	s_cmp_lg_u32 s28, 0
	s_cselect_b32 s28, s31, s29
	s_cselect_b32 s29, s33, s30
	s_cmp_lg_u64 s[26:27], 0
	s_subb_u32 s21, s21, s23
	s_cmp_ge_u32 s21, s19
	s_cselect_b32 s23, -1, 0
	s_cmp_ge_u32 s20, s18
	s_cselect_b32 s18, -1, 0
	s_cmp_eq_u32 s21, s19
	s_cselect_b32 s18, s18, s23
	s_cmp_lg_u32 s18, 0
	s_cselect_b32 s19, s29, s15
	s_cselect_b32 s18, s28, s11
	s_xor_b64 s[20:21], s[24:25], 0
	s_xor_b64 s[18:19], s[18:19], s[20:21]
	s_sub_u32 s18, s18, s20
	s_cbranch_execnz .LBB12_6
.LBB12_5:
	v_cvt_f32_u32_e32 v1, s22
	s_sub_i32 s11, 0, s22
	v_rcp_iflag_f32_e32 v1, v1
	v_mul_f32_e32 v1, 0x4f7ffffe, v1
	v_cvt_u32_f32_e32 v1, v1
	s_waitcnt lgkmcnt(0)
	v_readfirstlane_b32 s15, v1
	s_mul_i32 s11, s11, s15
	s_mul_hi_u32 s11, s15, s11
	s_add_i32 s15, s15, s11
	s_mul_hi_u32 s11, s9, s15
	s_mul_i32 s16, s11, s22
	s_sub_i32 s9, s9, s16
	s_add_i32 s15, s11, 1
	s_sub_i32 s16, s9, s22
	s_cmp_ge_u32 s9, s22
	s_cselect_b32 s11, s15, s11
	s_cselect_b32 s9, s16, s9
	s_add_i32 s15, s11, 1
	s_cmp_ge_u32 s9, s22
	s_cselect_b32 s18, s15, s11
.LBB12_6:
	s_cmp_eq_u32 s10, s18
	s_waitcnt lgkmcnt(0)
	s_mul_hi_u32 s9, s10, s12
	s_cselect_b64 s[16:17], -1, 0
	s_add_i32 s9, s9, s10
	s_lshr_b32 s11, s9, s13
	s_mul_i32 s9, s11, s14
	s_cmp_eq_u32 s9, s10
	s_mul_hi_u32 s9, s18, s12
	s_cselect_b64 s[20:21], -1, 0
	s_add_i32 s9, s9, s18
	s_lshr_b32 s9, s9, s13
	s_cmp_eq_u32 s11, s9
	s_mul_i32 s9, s9, s14
	s_cselect_b64 s[24:25], -1, 0
	s_cmp_lg_u32 s9, s18
	s_cselect_b64 s[18:19], -1, 0
	s_and_b64 s[18:19], s[24:25], s[18:19]
	s_or_b64 s[16:17], s[16:17], s[20:21]
	s_or_b64 s[16:17], s[16:17], s[18:19]
	s_and_b64 vcc, exec, s[16:17]
	s_cbranch_vccnz .LBB12_23
; %bb.7:
	s_load_dwordx8 s[24:31], s[4:5], 0x20
	s_load_dword s15, s[4:5], 0x40
	s_waitcnt lgkmcnt(0)
	s_mul_hi_u32 s9, s10, s24
	s_add_i32 s9, s9, s10
	s_lshr_b32 s9, s9, s25
	s_mul_i32 s16, s9, s26
	s_sub_i32 s16, s10, s16
	s_mul_hi_u32 s17, s16, s27
	s_add_i32 s17, s16, s17
	s_lshr_b32 s23, s17, s28
	s_mul_i32 s17, s23, s29
	s_sub_i32 s16, s16, s17
	;; [unrolled: 5-line block ×3, first 2 shown]
	s_mul_hi_u32 s16, s15, s12
	s_add_i32 s15, s15, s16
	s_lshr_b32 s25, s15, s13
	s_lshl_b32 s15, s25, 2
	s_lshl_b32 s24, s17, 3
	s_add_i32 s15, s15, s7
	s_cmp_lt_i32 s15, s0
	s_cselect_b64 s[16:17], -1, 0
	s_add_i32 s15, s24, s8
	s_cmp_lt_i32 s15, s2
	s_cselect_b64 s[18:19], -1, 0
	s_and_b64 s[16:17], s[16:17], s[18:19]
	s_andn2_b64 vcc, exec, s[16:17]
	s_cbranch_vccnz .LBB12_23
; %bb.8:
	s_load_dwordx4 s[16:19], s[4:5], 0x0
	s_mov_b32 s4, 0
	s_lshl_b32 s15, s7, 3
	s_lshl_b32 s20, s22, 7
	s_mov_b32 s21, s4
	s_add_i32 s15, s15, s8
	s_lshl_b64 s[20:21], s[20:21], 2
	s_waitcnt lgkmcnt(0)
	s_add_u32 s20, s18, s20
	s_mul_i32 s0, s9, s0
	s_addc_u32 s21, s19, s21
	s_add_i32 s0, s0, s7
	s_mul_i32 s0, s0, s1
	s_mul_i32 s23, s23, s2
	s_add_i32 s0, s0, s8
	s_add_i32 s0, s0, s23
	s_mul_i32 s2, s1, s25
	s_add_i32 s0, s0, s24
	s_lshl_b32 s2, s2, 9
	s_lshl_b32 s0, s0, 7
	s_add_i32 s2, s2, s0
	v_or_b32_e32 v1, s2, v0
	v_ashrrev_i32_e32 v2, 31, v1
	v_lshlrev_b64 v[1:2], 2, v[1:2]
	v_mov_b32_e32 v3, s17
	v_add_co_u32_e32 v1, vcc, s16, v1
	v_addc_co_u32_e32 v2, vcc, v3, v2, vcc
	global_load_dword v3, v[1:2], off
	v_cvt_f32_u32_e32 v4, s22
	s_lshl_b32 s0, s6, 5
	s_add_i32 s0, s15, s0
	s_ashr_i32 s1, s0, 31
	s_lshl_b64 s[0:1], s[0:1], 3
	v_rcp_iflag_f32_e32 v4, v4
	s_add_u32 s0, s18, s0
	s_addc_u32 s1, s19, s1
	s_load_dwordx2 s[0:1], s[0:1], 0x0
	v_mul_f32_e32 v4, 0x4f7ffffe, v4
	v_cvt_u32_f32_e32 v4, v4
	s_add_i32 s24, s6, -1
	v_lshl_or_b32 v0, s15, 7, v0
	s_waitcnt lgkmcnt(0)
	v_mov_b32_e32 v6, s1
	v_mov_b32_e32 v7, s0
	s_mov_b32 s2, 0x3fb8aa3b
	s_mov_b32 s16, 0xc2ce8ed0
	;; [unrolled: 1-line block ×4, first 2 shown]
	v_mov_b32_e32 v5, 0x7f800000
	s_mul_hi_i32 s5, s24, s3
	s_cmp_lg_u64 s[4:5], 0
	s_mul_i32 s8, s24, s3
	s_cbranch_scc0 .LBB12_19
.LBB12_9:
	s_add_u32 s0, s22, 0
	s_addc_u32 s1, 0, 0
	s_xor_b64 s[0:1], s[0:1], 0
	v_cvt_f32_u32_e32 v8, s0
	v_cvt_f32_u32_e32 v9, s1
	s_sub_u32 s9, 0, s0
	s_subb_u32 s25, 0, s1
	v_mac_f32_e32 v8, 0x4f800000, v9
	v_rcp_f32_e32 v8, v8
	v_mul_f32_e32 v8, 0x5f7ffffc, v8
	v_mul_f32_e32 v9, 0x2f800000, v8
	v_trunc_f32_e32 v9, v9
	v_mac_f32_e32 v8, 0xcf800000, v9
	v_cvt_u32_f32_e32 v9, v9
	v_cvt_u32_f32_e32 v8, v8
	v_readfirstlane_b32 s26, v9
	v_readfirstlane_b32 s6, v8
	s_mul_i32 s7, s9, s26
	s_mul_hi_u32 s28, s9, s6
	s_mul_i32 s27, s25, s6
	s_add_i32 s7, s28, s7
	s_mul_i32 s29, s9, s6
	s_add_i32 s7, s7, s27
	s_mul_i32 s28, s6, s7
	s_mul_hi_u32 s30, s6, s29
	s_mul_hi_u32 s27, s6, s7
	s_add_u32 s28, s30, s28
	s_addc_u32 s27, 0, s27
	s_mul_hi_u32 s31, s26, s29
	s_mul_i32 s29, s26, s29
	s_add_u32 s28, s28, s29
	s_mul_hi_u32 s30, s26, s7
	s_addc_u32 s27, s27, s31
	s_addc_u32 s28, s30, 0
	s_mul_i32 s7, s26, s7
	s_add_u32 s7, s27, s7
	s_addc_u32 s27, 0, s28
	s_add_u32 s28, s6, s7
	s_cselect_b64 s[6:7], -1, 0
	s_cmp_lg_u64 s[6:7], 0
	s_addc_u32 s26, s26, s27
	s_mul_i32 s6, s9, s26
	s_mul_hi_u32 s7, s9, s28
	s_add_i32 s6, s7, s6
	s_mul_i32 s25, s25, s28
	s_add_i32 s6, s6, s25
	s_mul_i32 s9, s9, s28
	s_mul_hi_u32 s25, s26, s9
	s_mul_i32 s27, s26, s9
	s_mul_i32 s30, s28, s6
	s_mul_hi_u32 s9, s28, s9
	s_mul_hi_u32 s29, s28, s6
	s_add_u32 s9, s9, s30
	s_addc_u32 s29, 0, s29
	s_add_u32 s9, s9, s27
	s_mul_hi_u32 s7, s26, s6
	s_addc_u32 s9, s29, s25
	s_addc_u32 s7, s7, 0
	s_mul_i32 s6, s26, s6
	s_add_u32 s6, s9, s6
	s_addc_u32 s9, 0, s7
	s_add_u32 s25, s28, s6
	s_cselect_b64 s[6:7], -1, 0
	s_cmp_lg_u64 s[6:7], 0
	s_addc_u32 s9, s26, s9
	s_ashr_i32 s6, s5, 31
	s_add_u32 s26, s8, s6
	s_mov_b32 s7, s6
	s_addc_u32 s27, s5, s6
	s_xor_b64 s[26:27], s[26:27], s[6:7]
	s_mul_i32 s28, s26, s9
	s_mul_hi_u32 s29, s26, s25
	s_mul_hi_u32 s5, s26, s9
	s_add_u32 s28, s29, s28
	s_addc_u32 s5, 0, s5
	s_mul_hi_u32 s30, s27, s25
	s_mul_i32 s25, s27, s25
	s_add_u32 s25, s28, s25
	s_mul_hi_u32 s29, s27, s9
	s_addc_u32 s5, s5, s30
	s_addc_u32 s25, s29, 0
	s_mul_i32 s9, s27, s9
	s_add_u32 s5, s5, s9
	s_addc_u32 s9, 0, s25
	s_mul_i32 s25, s0, s9
	s_mul_hi_u32 s28, s0, s5
	s_add_i32 s25, s28, s25
	s_mul_i32 s28, s1, s5
	s_add_i32 s25, s25, s28
	s_sub_i32 s30, s27, s25
	s_mul_i32 s28, s0, s5
	s_sub_u32 s26, s26, s28
	s_cselect_b64 s[28:29], -1, 0
	s_cmp_lg_u64 s[28:29], 0
	s_subb_u32 s33, s30, s1
	s_sub_u32 s34, s26, s0
	s_cselect_b64 s[30:31], -1, 0
	s_cmp_lg_u64 s[30:31], 0
	s_subb_u32 s30, s33, 0
	s_cmp_ge_u32 s30, s1
	s_cselect_b32 s31, -1, 0
	s_cmp_ge_u32 s34, s0
	s_cselect_b32 s33, -1, 0
	s_cmp_eq_u32 s30, s1
	s_cselect_b32 s30, s33, s31
	s_add_u32 s31, s5, 1
	s_addc_u32 s33, s9, 0
	s_add_u32 s34, s5, 2
	s_addc_u32 s35, s9, 0
	s_cmp_lg_u32 s30, 0
	s_cselect_b32 s30, s34, s31
	s_cselect_b32 s31, s35, s33
	s_cmp_lg_u64 s[28:29], 0
	s_subb_u32 s25, s27, s25
	s_cmp_ge_u32 s25, s1
	s_cselect_b32 s27, -1, 0
	s_cmp_ge_u32 s26, s0
	s_cselect_b32 s0, -1, 0
	s_cmp_eq_u32 s25, s1
	s_cselect_b32 s0, s0, s27
	s_cmp_lg_u32 s0, 0
	s_cselect_b32 s1, s31, s9
	s_cselect_b32 s0, s30, s5
	s_xor_b64 s[6:7], s[6:7], 0
	s_xor_b64 s[0:1], s[0:1], s[6:7]
	s_sub_u32 s6, s0, s6
	s_cbranch_execnz .LBB12_11
.LBB12_10:
	s_sub_i32 s0, 0, s22
	v_readfirstlane_b32 s1, v4
	s_mul_i32 s0, s0, s1
	s_mul_hi_u32 s0, s1, s0
	s_add_i32 s1, s1, s0
	s_mul_hi_u32 s0, s8, s1
	s_mul_i32 s5, s0, s22
	s_sub_i32 s5, s8, s5
	s_add_i32 s1, s0, 1
	s_sub_i32 s6, s5, s22
	s_cmp_ge_u32 s5, s22
	s_cselect_b32 s0, s1, s0
	s_cselect_b32 s5, s6, s5
	s_add_i32 s1, s0, 1
	s_cmp_ge_u32 s5, s22
	s_cselect_b32 s6, s1, s0
.LBB12_11:
	s_cmp_lg_u32 s10, s6
	s_mov_b64 s[8:9], -1
                                        ; implicit-def: $sgpr0_sgpr1
                                        ; implicit-def: $vgpr10
                                        ; implicit-def: $vgpr8
                                        ; implicit-def: $vgpr9
                                        ; implicit-def: $sgpr5
                                        ; implicit-def: $sgpr7
	s_cbranch_scc1 .LBB12_14
; %bb.12:
	s_andn2_b64 vcc, exec, s[8:9]
	s_cbranch_vccz .LBB12_17
.LBB12_13:
	s_andn2_b64 vcc, exec, s[0:1]
	s_cbranch_vccnz .LBB12_18
	s_branch .LBB12_22
.LBB12_14:
	s_add_i32 s0, s24, s22
	s_lshl_b32 s0, s0, 5
	s_add_i32 s0, s0, s15
	s_mov_b32 s1, s4
	s_lshl_b64 s[0:1], s[0:1], 3
	s_add_u32 s8, s18, s0
	s_mul_hi_u32 s0, s6, s12
	s_addc_u32 s9, s19, s1
	s_add_i32 s0, s0, s6
	s_lshr_b32 s5, s0, s13
	s_mul_i32 s0, s5, s14
	s_cmp_eq_u32 s0, s6
	s_cselect_b64 s[0:1], -1, 0
	s_cmp_lt_u32 s5, s11
	s_cselect_b64 s[26:27], -1, 0
	s_or_b64 s[26:27], s[26:27], s[0:1]
	s_mov_b64 s[0:1], -1
	s_and_b64 vcc, exec, s[26:27]
	s_mov_b32 s5, s24
	s_mov_b32 s7, s10
	s_cbranch_vccnz .LBB12_16
; %bb.15:
	s_add_i32 s5, s24, -1
	s_mov_b64 s[0:1], 0
	s_mov_b32 s7, s6
.LBB12_16:
	v_lshl_add_u32 v8, s24, 12, v0
	v_ashrrev_i32_e32 v9, 31, v8
	v_lshlrev_b64 v[8:9], 2, v[8:9]
	v_mov_b32_e32 v10, s21
	v_add_co_u32_e32 v8, vcc, s20, v8
	v_addc_co_u32_e32 v9, vcc, v10, v9, vcc
	global_load_dword v10, v[8:9], off
	s_load_dwordx2 s[8:9], s[8:9], 0x0
	v_max_f32_e32 v8, v7, v7
	s_waitcnt lgkmcnt(0)
	v_max_f32_e64 v9, s8, s8
	v_max_f32_e32 v8, v8, v9
	v_sub_f32_e32 v9, v7, v8
	v_sub_f32_e32 v11, s8, v8
	v_mul_f32_e32 v12, 0x3fb8aa3b, v9
	v_mul_f32_e32 v13, 0x3fb8aa3b, v11
	v_fma_f32 v14, v9, s2, -v12
	v_rndne_f32_e32 v15, v12
	v_fma_f32 v16, v11, s2, -v13
	v_rndne_f32_e32 v17, v13
	v_fmac_f32_e32 v14, 0x32a5705f, v9
	v_sub_f32_e32 v12, v12, v15
	v_fmac_f32_e32 v16, 0x32a5705f, v11
	v_sub_f32_e32 v13, v13, v17
	v_add_f32_e32 v12, v12, v14
	v_cvt_i32_f32_e32 v15, v15
	v_add_f32_e32 v13, v13, v16
	v_exp_f32_e32 v12, v12
	v_cvt_i32_f32_e32 v17, v17
	v_exp_f32_e32 v13, v13
	v_cmp_ngt_f32_e32 vcc, s16, v9
	v_ldexp_f32 v12, v12, v15
	v_cndmask_b32_e32 v12, 0, v12, vcc
	v_ldexp_f32 v13, v13, v17
	v_cmp_ngt_f32_e32 vcc, s16, v11
	v_cndmask_b32_e32 v13, 0, v13, vcc
	v_cmp_nlt_f32_e32 vcc, s17, v9
	v_cndmask_b32_e32 v12, v5, v12, vcc
	v_cmp_nlt_f32_e32 vcc, s17, v11
	v_cndmask_b32_e32 v13, v5, v13, vcc
	v_cmp_le_f32_e32 vcc, s23, v9
	v_cndmask_b32_e32 v12, 0, v12, vcc
	v_cmp_le_f32_e32 vcc, s23, v11
	v_cndmask_b32_e32 v11, 0, v13, vcc
	v_mul_f32_e32 v9, s9, v11
	v_fmac_f32_e32 v9, v6, v12
	s_waitcnt vmcnt(0)
	v_mul_f32_e32 v10, v10, v11
	v_fmac_f32_e32 v10, v3, v12
	s_cbranch_execnz .LBB12_13
.LBB12_17:
	s_add_i32 s5, s24, -1
	s_mov_b32 s7, s10
	v_mov_b32_e32 v9, v6
	v_mov_b32_e32 v8, v7
	s_waitcnt vmcnt(0)
	v_mov_b32_e32 v10, v3
	s_cbranch_execz .LBB12_22
.LBB12_18:
	s_mov_b32 s10, s7
	s_mov_b32 s24, s5
	v_mov_b32_e32 v6, v9
	v_mov_b32_e32 v7, v8
	s_waitcnt vmcnt(0)
	v_mov_b32_e32 v3, v10
	s_mul_hi_i32 s5, s24, s3
	s_cmp_lg_u64 s[4:5], 0
	s_mul_i32 s8, s24, s3
	s_cbranch_scc1 .LBB12_9
.LBB12_19:
                                        ; implicit-def: $sgpr6_sgpr7
	s_branch .LBB12_10
.LBB12_20:
                                        ; implicit-def: $sgpr10_sgpr11
	s_load_dwordx4 s[12:15], s[4:5], 0x44
	s_branch .LBB12_2
.LBB12_21:
                                        ; implicit-def: $sgpr18_sgpr19
	s_branch .LBB12_5
.LBB12_22:
	v_div_scale_f32 v0, s[0:1], v9, v9, v10
	s_waitcnt vmcnt(0)
	v_div_scale_f32 v3, vcc, v10, v9, v10
	v_rcp_f32_e32 v4, v0
	v_fma_f32 v5, -v0, v4, 1.0
	v_fmac_f32_e32 v4, v5, v4
	v_mul_f32_e32 v5, v3, v4
	v_fma_f32 v6, -v0, v5, v3
	v_fmac_f32_e32 v5, v6, v4
	v_fma_f32 v0, -v0, v5, v3
	v_div_fmas_f32 v0, v0, v4, v5
	v_div_fixup_f32 v0, v0, v9, v10
	global_store_dword v[1:2], v0, off
.LBB12_23:
	s_endpgm
	.section	.rodata,"a",@progbits
	.p2align	6, 0x0
	.amdhsa_kernel _ZL33flash_attn_stream_k_fixup_generalILi128ELi4ELi8EEvPfPK15HIP_vector_typeIfLj2EEiiiiS1_IjLj3EES5_S5_S5_
		.amdhsa_group_segment_fixed_size 0
		.amdhsa_private_segment_fixed_size 0
		.amdhsa_kernarg_size 336
		.amdhsa_user_sgpr_count 6
		.amdhsa_user_sgpr_private_segment_buffer 1
		.amdhsa_user_sgpr_dispatch_ptr 0
		.amdhsa_user_sgpr_queue_ptr 0
		.amdhsa_user_sgpr_kernarg_segment_ptr 1
		.amdhsa_user_sgpr_dispatch_id 0
		.amdhsa_user_sgpr_flat_scratch_init 0
		.amdhsa_user_sgpr_private_segment_size 0
		.amdhsa_uses_dynamic_stack 0
		.amdhsa_system_sgpr_private_segment_wavefront_offset 0
		.amdhsa_system_sgpr_workgroup_id_x 1
		.amdhsa_system_sgpr_workgroup_id_y 1
		.amdhsa_system_sgpr_workgroup_id_z 1
		.amdhsa_system_sgpr_workgroup_info 0
		.amdhsa_system_vgpr_workitem_id 0
		.amdhsa_next_free_vgpr 18
		.amdhsa_next_free_sgpr 36
		.amdhsa_reserve_vcc 1
		.amdhsa_reserve_flat_scratch 0
		.amdhsa_float_round_mode_32 0
		.amdhsa_float_round_mode_16_64 0
		.amdhsa_float_denorm_mode_32 3
		.amdhsa_float_denorm_mode_16_64 3
		.amdhsa_dx10_clamp 1
		.amdhsa_ieee_mode 1
		.amdhsa_fp16_overflow 0
		.amdhsa_exception_fp_ieee_invalid_op 0
		.amdhsa_exception_fp_denorm_src 0
		.amdhsa_exception_fp_ieee_div_zero 0
		.amdhsa_exception_fp_ieee_overflow 0
		.amdhsa_exception_fp_ieee_underflow 0
		.amdhsa_exception_fp_ieee_inexact 0
		.amdhsa_exception_int_div_zero 0
	.end_amdhsa_kernel
	.section	.text._ZL33flash_attn_stream_k_fixup_generalILi128ELi4ELi8EEvPfPK15HIP_vector_typeIfLj2EEiiiiS1_IjLj3EES5_S5_S5_,"axG",@progbits,_ZL33flash_attn_stream_k_fixup_generalILi128ELi4ELi8EEvPfPK15HIP_vector_typeIfLj2EEiiiiS1_IjLj3EES5_S5_S5_,comdat
.Lfunc_end12:
	.size	_ZL33flash_attn_stream_k_fixup_generalILi128ELi4ELi8EEvPfPK15HIP_vector_typeIfLj2EEiiiiS1_IjLj3EES5_S5_S5_, .Lfunc_end12-_ZL33flash_attn_stream_k_fixup_generalILi128ELi4ELi8EEvPfPK15HIP_vector_typeIfLj2EEiiiiS1_IjLj3EES5_S5_S5_
                                        ; -- End function
	.set _ZL33flash_attn_stream_k_fixup_generalILi128ELi4ELi8EEvPfPK15HIP_vector_typeIfLj2EEiiiiS1_IjLj3EES5_S5_S5_.num_vgpr, 18
	.set _ZL33flash_attn_stream_k_fixup_generalILi128ELi4ELi8EEvPfPK15HIP_vector_typeIfLj2EEiiiiS1_IjLj3EES5_S5_S5_.num_agpr, 0
	.set _ZL33flash_attn_stream_k_fixup_generalILi128ELi4ELi8EEvPfPK15HIP_vector_typeIfLj2EEiiiiS1_IjLj3EES5_S5_S5_.numbered_sgpr, 36
	.set _ZL33flash_attn_stream_k_fixup_generalILi128ELi4ELi8EEvPfPK15HIP_vector_typeIfLj2EEiiiiS1_IjLj3EES5_S5_S5_.num_named_barrier, 0
	.set _ZL33flash_attn_stream_k_fixup_generalILi128ELi4ELi8EEvPfPK15HIP_vector_typeIfLj2EEiiiiS1_IjLj3EES5_S5_S5_.private_seg_size, 0
	.set _ZL33flash_attn_stream_k_fixup_generalILi128ELi4ELi8EEvPfPK15HIP_vector_typeIfLj2EEiiiiS1_IjLj3EES5_S5_S5_.uses_vcc, 1
	.set _ZL33flash_attn_stream_k_fixup_generalILi128ELi4ELi8EEvPfPK15HIP_vector_typeIfLj2EEiiiiS1_IjLj3EES5_S5_S5_.uses_flat_scratch, 0
	.set _ZL33flash_attn_stream_k_fixup_generalILi128ELi4ELi8EEvPfPK15HIP_vector_typeIfLj2EEiiiiS1_IjLj3EES5_S5_S5_.has_dyn_sized_stack, 0
	.set _ZL33flash_attn_stream_k_fixup_generalILi128ELi4ELi8EEvPfPK15HIP_vector_typeIfLj2EEiiiiS1_IjLj3EES5_S5_S5_.has_recursion, 0
	.set _ZL33flash_attn_stream_k_fixup_generalILi128ELi4ELi8EEvPfPK15HIP_vector_typeIfLj2EEiiiiS1_IjLj3EES5_S5_S5_.has_indirect_call, 0
	.section	.AMDGPU.csdata,"",@progbits
; Kernel info:
; codeLenInByte = 2940
; TotalNumSgprs: 40
; NumVgprs: 18
; ScratchSize: 0
; MemoryBound: 0
; FloatMode: 240
; IeeeMode: 1
; LDSByteSize: 0 bytes/workgroup (compile time only)
; SGPRBlocks: 4
; VGPRBlocks: 4
; NumSGPRsForWavesPerEU: 40
; NumVGPRsForWavesPerEU: 18
; Occupancy: 10
; WaveLimiterHint : 0
; COMPUTE_PGM_RSRC2:SCRATCH_EN: 0
; COMPUTE_PGM_RSRC2:USER_SGPR: 6
; COMPUTE_PGM_RSRC2:TRAP_HANDLER: 0
; COMPUTE_PGM_RSRC2:TGID_X_EN: 1
; COMPUTE_PGM_RSRC2:TGID_Y_EN: 1
; COMPUTE_PGM_RSRC2:TGID_Z_EN: 1
; COMPUTE_PGM_RSRC2:TIDIG_COMP_CNT: 0
	.section	.text._ZL15flash_attn_tileILi192ELi128ELi2ELi8ELb0EEvPKcS1_S1_S1_S1_PKiPfP15HIP_vector_typeIfLj2EEffffjfiS5_IjLj3EEiiiiiiiiiiiliiliiiiil,"axG",@progbits,_ZL15flash_attn_tileILi192ELi128ELi2ELi8ELb0EEvPKcS1_S1_S1_S1_PKiPfP15HIP_vector_typeIfLj2EEffffjfiS5_IjLj3EEiiiiiiiiiiiliiliiiiil,comdat
	.globl	_ZL15flash_attn_tileILi192ELi128ELi2ELi8ELb0EEvPKcS1_S1_S1_S1_PKiPfP15HIP_vector_typeIfLj2EEffffjfiS5_IjLj3EEiiiiiiiiiiiliiliiiiil ; -- Begin function _ZL15flash_attn_tileILi192ELi128ELi2ELi8ELb0EEvPKcS1_S1_S1_S1_PKiPfP15HIP_vector_typeIfLj2EEffffjfiS5_IjLj3EEiiiiiiiiiiiliiliiiiil
	.p2align	8
	.type	_ZL15flash_attn_tileILi192ELi128ELi2ELi8ELb0EEvPKcS1_S1_S1_S1_PKiPfP15HIP_vector_typeIfLj2EEffffjfiS5_IjLj3EEiiiiiiiiiiiliiliiiiil,@function
_ZL15flash_attn_tileILi192ELi128ELi2ELi8ELb0EEvPKcS1_S1_S1_S1_PKiPfP15HIP_vector_typeIfLj2EEffffjfiS5_IjLj3EEiiiiiiiiiiiliiliiiiil: ; @_ZL15flash_attn_tileILi192ELi128ELi2ELi8ELb0EEvPKcS1_S1_S1_S1_PKiPfP15HIP_vector_typeIfLj2EEffffjfiS5_IjLj3EEiiiiiiiiiiiliiliiiiil
; %bb.0:
	s_load_dwordx4 s[24:27], s[4:5], 0x5c
	s_load_dwordx2 s[28:29], s[4:5], 0x80
	s_mov_b64 s[30:31], 0
	s_waitcnt lgkmcnt(0)
	s_ashr_i32 s0, s27, 31
	s_lshr_b32 s0, s0, 29
	s_add_i32 s0, s27, s0
	s_ashr_i32 s0, s0, 3
	v_cvt_f32_u32_e32 v2, s0
	s_sub_i32 s1, 0, s0
	v_rcp_iflag_f32_e32 v2, v2
	v_mul_f32_e32 v2, 0x4f7ffffe, v2
	v_cvt_u32_f32_e32 v2, v2
	v_readfirstlane_b32 s2, v2
	s_mul_i32 s1, s1, s2
	s_mul_hi_u32 s1, s2, s1
	s_add_i32 s2, s2, s1
	s_mul_hi_u32 s1, s8, s2
	s_mul_i32 s2, s1, s0
	s_sub_i32 s2, s8, s2
	s_add_i32 s3, s1, 1
	s_sub_i32 s9, s2, s0
	s_cmp_ge_u32 s2, s0
	s_cselect_b32 s1, s3, s1
	s_cselect_b32 s2, s9, s2
	s_add_i32 s3, s1, 1
	s_cmp_ge_u32 s2, s0
	s_cselect_b32 s33, s3, s1
	s_abs_i32 s0, s29
	v_cvt_f32_u32_e32 v2, s0
	s_lshl_b32 s1, s8, 3
	s_mul_i32 s8, s33, s27
	s_xor_b32 s2, s27, s29
	v_rcp_iflag_f32_e32 v2, v2
	s_sub_i32 s9, 0, s0
	s_sub_i32 s29, s1, s8
	s_abs_i32 s3, s27
	v_mul_f32_e32 v2, 0x4f7ffffe, v2
	v_cvt_u32_f32_e32 v2, v2
	s_ashr_i32 s2, s2, 31
	v_readfirstlane_b32 s1, v2
	s_mul_i32 s9, s9, s1
	s_mul_hi_u32 s8, s1, s9
	s_add_i32 s1, s1, s8
	s_mul_hi_u32 s1, s3, s1
	s_mul_i32 s8, s1, s0
	s_sub_i32 s3, s3, s8
	s_add_i32 s9, s1, 1
	s_sub_i32 s8, s3, s0
	s_cmp_ge_u32 s3, s0
	s_cselect_b32 s1, s9, s1
	s_cselect_b32 s3, s8, s3
	s_add_i32 s8, s1, 1
	s_cmp_ge_u32 s3, s0
	s_cselect_b32 s0, s8, s1
	s_xor_b32 s0, s0, s2
	s_sub_i32 s35, s0, s2
	s_abs_i32 s34, s35
	v_cvt_f32_u32_e32 v2, s34
	s_load_dwordx16 s[8:23], s[4:5], 0x0
	s_load_dwordx2 s[2:3], s[4:5], 0xb8
	v_rcp_iflag_f32_e32 v2, v2
	s_waitcnt lgkmcnt(0)
	s_cmp_eq_u64 s[14:15], 0
	v_mul_f32_e32 v2, 0x4f7ffffe, v2
	v_cvt_u32_f32_e32 v2, v2
	v_readfirstlane_b32 s36, v2
	s_cbranch_scc1 .LBB13_2
; %bb.1:
	s_abs_i32 s2, s2
	v_cvt_f32_u32_e32 v2, s2
	s_sub_i32 s37, 0, s2
	s_abs_i32 s31, s33
	s_ashr_i32 s30, s33, 31
	v_rcp_iflag_f32_e32 v2, v2
	s_load_dwordx2 s[0:1], s[4:5], 0xc8
	v_mul_f32_e32 v2, 0x4f7ffffe, v2
	v_cvt_u32_f32_e32 v2, v2
	v_readfirstlane_b32 s38, v2
	s_mul_i32 s37, s37, s38
	s_mul_hi_u32 s37, s38, s37
	s_add_i32 s38, s38, s37
	s_mul_hi_u32 s37, s31, s38
	s_mul_i32 s37, s37, s2
	s_sub_i32 s31, s31, s37
	s_sub_i32 s37, s31, s2
	s_cmp_ge_u32 s31, s2
	s_cselect_b32 s31, s37, s31
	s_sub_i32 s37, s31, s2
	s_cmp_ge_u32 s31, s2
	s_cselect_b32 s2, s37, s31
	s_xor_b32 s2, s2, s30
	s_sub_i32 s2, s2, s30
	s_ashr_i32 s30, s2, 31
	s_waitcnt lgkmcnt(0)
	s_mul_hi_u32 s31, s0, s2
	s_mul_i32 s30, s0, s30
	s_mul_i32 s1, s1, s2
	s_add_i32 s30, s31, s30
	s_add_i32 s1, s30, s1
	s_mul_i32 s0, s0, s2
	s_add_u32 s30, s14, s0
	s_addc_u32 s31, s15, s1
.LBB13_2:
	v_lshrrev_b32_e32 v2, 2, v1
	s_load_dwordx4 s[40:43], s[4:5], 0x70
	v_lshl_add_u32 v7, s6, 1, v2
	v_mul_hi_u32 v2, s24, v7
	v_lshlrev_b32_e32 v18, 1, v1
	v_and_b32_e32 v8, 6, v18
	s_waitcnt lgkmcnt(0)
	s_mul_i32 s0, s33, s42
	v_add_u32_e32 v2, v7, v2
	s_ashr_i32 s2, s0, 31
	v_lshrrev_b32_e32 v2, s25, v2
	s_mul_i32 s1, s29, s41
	s_add_u32 s0, s8, s0
	v_mul_lo_u32 v2, v2, s26
	s_addc_u32 s2, s9, s2
	s_ashr_i32 s8, s1, 31
	s_add_u32 s24, s0, s1
	s_addc_u32 s2, s2, s8
	s_ashr_i32 s9, s41, 31
	s_mov_b32 s8, s41
	s_ashr_i32 s41, s40, 31
	v_sub_u32_e32 v4, v7, v2
	s_lshr_b64 s[0:1], s[40:41], 2
	v_mad_u64_u32 v[2:3], s[0:1], s0, v4, 0
	s_lshr_b32 s0, s41, 2
	v_mov_b32_e32 v9, s2
	v_mad_u64_u32 v[5:6], s[0:1], s0, v4, v[3:4]
	s_lshr_b64 s[0:1], s[8:9], 2
	s_lshr_b32 s2, s9, 2
	v_mov_b32_e32 v3, v5
	v_mad_u64_u32 v[5:6], s[14:15], s0, v8, 0
	v_lshlrev_b64 v[2:3], 2, v[2:3]
	v_add_co_u32_e32 v10, vcc, s24, v2
	v_mov_b32_e32 v2, v6
	v_addc_co_u32_e32 v11, vcc, v9, v3, vcc
	v_mad_u64_u32 v[2:3], s[8:9], s2, v8, v[2:3]
	v_lshlrev_b32_e32 v9, 4, v0
	v_add_co_u32_e32 v9, vcc, v10, v9
	v_mov_b32_e32 v6, v2
	v_lshlrev_b64 v[2:3], 2, v[5:6]
	v_addc_co_u32_e32 v10, vcc, 0, v11, vcc
	v_add_co_u32_e32 v2, vcc, v9, v2
	v_addc_co_u32_e32 v3, vcc, v10, v3, vcc
	global_load_dwordx4 v[11:14], v[2:3], off
	s_load_dword s2, s[4:5], 0x40
	v_lshlrev_b32_e32 v5, 3, v0
	s_movk_i32 s8, 0x300
	v_mul_u32_u24_e32 v6, 0x300, v1
	v_mad_u32_u24 v15, v1, s8, v5
	v_cmp_gt_u32_e32 vcc, 16, v0
	s_waitcnt vmcnt(0) lgkmcnt(0)
	v_fma_mixlo_f16 v11, s2, v11, 0
	v_fma_mixlo_f16 v12, s2, v12, 0
	;; [unrolled: 1-line block ×4, first 2 shown]
	v_lshlrev_b32_e32 v12, 16, v12
	v_and_b32_e32 v11, 0xffff, v11
	v_lshlrev_b32_e32 v14, 16, v14
	v_and_b32_e32 v13, 0xffff, v13
	v_or_b32_e32 v11, v12, v11
	v_or3_b32 v12, v14, v13, 0
	v_or3_b32 v11, 0, 0, v11
	ds_write_b64 v15, v[11:12]
	s_and_saveexec_b64 s[8:9], vcc
	s_cbranch_execz .LBB13_4
; %bb.3:
	global_load_dwordx4 v[11:14], v[2:3], off offset:512
	s_waitcnt vmcnt(0)
	v_fma_mixlo_f16 v2, s2, v11, 0
	v_fma_mixlo_f16 v3, s2, v12, 0
	;; [unrolled: 1-line block ×4, first 2 shown]
	v_lshlrev_b32_e32 v3, 16, v3
	v_and_b32_e32 v2, 0xffff, v2
	v_lshlrev_b32_e32 v12, 16, v12
	v_and_b32_e32 v11, 0xffff, v11
	v_or_b32_e32 v2, v3, v2
	v_or3_b32 v3, v12, v11, 0
	v_or3_b32 v2, 0, 0, v2
	v_add_u32_e32 v11, v5, v6
	ds_write_b64 v11, v[2:3] offset:256
.LBB13_4:
	s_or_b64 exec, exec, s[8:9]
	v_or_b32_e32 v11, 1, v18
	v_and_b32_e32 v12, 7, v11
	v_mad_u64_u32 v[2:3], s[8:9], s0, v12, 0
	v_mad_u64_u32 v[12:13], s[0:1], s1, v12, v[3:4]
	v_mov_b32_e32 v3, v12
	v_lshlrev_b64 v[2:3], 2, v[2:3]
	v_add_co_u32_e64 v2, s[0:1], v9, v2
	v_addc_co_u32_e64 v3, s[0:1], v10, v3, s[0:1]
	global_load_dwordx4 v[12:15], v[2:3], off
	s_movk_i32 s0, 0x180
	v_mad_u32_u24 v16, v11, s0, v5
	s_waitcnt vmcnt(0)
	v_fma_mixlo_f16 v9, s2, v12, 0
	v_fma_mixlo_f16 v10, s2, v13, 0
	;; [unrolled: 1-line block ×4, first 2 shown]
	v_lshlrev_b32_e32 v10, 16, v10
	v_and_b32_e32 v9, 0xffff, v9
	v_lshlrev_b32_e32 v13, 16, v13
	v_and_b32_e32 v12, 0xffff, v12
	v_or_b32_e32 v9, v10, v9
	v_or3_b32 v10, v13, v12, 0
	v_or3_b32 v9, 0, 0, v9
	ds_write_b64 v16, v[9:10]
	s_and_saveexec_b64 s[0:1], vcc
	s_cbranch_execz .LBB13_6
; %bb.5:
	global_load_dwordx4 v[12:15], v[2:3], off offset:512
	v_mul_u32_u24_e32 v9, 0x180, v11
	v_add_u32_e32 v9, v5, v9
	s_waitcnt vmcnt(0)
	v_fma_mixlo_f16 v2, s2, v12, 0
	v_fma_mixlo_f16 v3, s2, v13, 0
	;; [unrolled: 1-line block ×4, first 2 shown]
	v_lshlrev_b32_e32 v3, 16, v3
	v_and_b32_e32 v2, 0xffff, v2
	v_lshlrev_b32_e32 v11, 16, v11
	v_and_b32_e32 v10, 0xffff, v10
	v_or_b32_e32 v2, v3, v2
	v_or3_b32 v3, v11, v10, 0
	v_or3_b32 v2, 0, 0, v2
	ds_write_b64 v9, v[2:3] offset:256
.LBB13_6:
	s_or_b64 exec, exec, s[0:1]
	s_cmp_eq_u64 s[18:19], 0
	s_waitcnt lgkmcnt(0)
	s_barrier
	s_cbranch_scc1 .LBB13_8
; %bb.7:
	s_load_dword s0, s[4:5], 0xd0
	s_mov_b32 s1, 0
	s_waitcnt lgkmcnt(0)
	s_mul_i32 s0, s0, s33
	s_add_i32 s0, s0, s6
	s_lshl_b64 s[0:1], s[0:1], 2
	s_add_u32 s0, s18, s0
	s_addc_u32 s1, s19, s1
	s_load_dword s28, s[0:1], 0x0
.LBB13_8:
	s_lshl_b32 s6, s7, 5
	s_waitcnt lgkmcnt(0)
	s_cmp_lt_i32 s6, s28
	v_mbcnt_lo_u32_b32 v2, -1, 0
	s_cbranch_scc1 .LBB13_11
; %bb.9:
	v_mbcnt_hi_u32_b32 v10, -1, v2
	v_and_b32_e32 v3, 0x60, v10
	v_add_u32_e32 v11, 32, v3
	v_xor_b32_e32 v17, 16, v10
	v_xor_b32_e32 v15, 8, v10
	;; [unrolled: 1-line block ×5, first 2 shown]
	v_lshlrev_b32_e32 v9, 2, v0
	s_cbranch_execz .LBB13_12
; %bb.10:
	v_mov_b32_e32 v34, 0
	v_mov_b32_e32 v18, 0
	v_mov_b32_e32 v2, 0xfeffffff
	v_mov_b32_e32 v1, 0xfeffffff
	v_mov_b32_e32 v16, 0
	v_mov_b32_e32 v35, 0
	v_mov_b32_e32 v33, 0
	v_mov_b32_e32 v32, 0
	s_branch .LBB13_14
.LBB13_11:
                                        ; implicit-def: $vgpr10
                                        ; implicit-def: $vgpr11
                                        ; implicit-def: $vgpr17
                                        ; implicit-def: $vgpr15
                                        ; implicit-def: $vgpr14
                                        ; implicit-def: $vgpr13
                                        ; implicit-def: $vgpr12
	v_lshlrev_b32_e32 v9, 2, v0
.LBB13_12:
	s_sub_i32 s0, 0, s34
	s_mul_i32 s0, s0, s36
	s_mul_hi_u32 s0, s36, s0
	s_add_i32 s8, s36, s0
	s_load_dwordx2 s[0:1], s[4:5], 0x8c
	s_load_dwordx4 s[36:39], s[4:5], 0x98
	s_ashr_i32 s18, s35, 31
	s_abs_i32 s2, s29
	s_ashr_i32 s15, s29, 31
	s_waitcnt lgkmcnt(0)
	s_ashr_i32 s25, s0, 2
	s_ashr_i32 s0, s33, 31
	s_mul_hi_u32 s19, s36, s33
	s_mul_i32 s35, s36, s0
	s_add_i32 s19, s19, s35
	s_mul_i32 s35, s37, s33
	s_ashr_i32 s24, s38, 2
	s_ashr_i32 s3, s3, 1
	s_add_i32 s19, s19, s35
	s_mul_i32 s35, s36, s33
	s_mul_hi_u32 s14, s2, s8
	s_add_u32 s10, s10, s35
	s_addc_u32 s11, s11, s19
	s_xor_b32 s15, s15, s18
	s_mul_i32 s18, s14, s34
	s_sub_i32 s2, s2, s18
	s_add_i32 s18, s14, 1
	s_sub_i32 s19, s2, s34
	s_cmp_ge_u32 s2, s34
	s_cselect_b32 s14, s18, s14
	s_cselect_b32 s2, s19, s2
	s_add_i32 s18, s14, 1
	s_cmp_ge_u32 s2, s34
	s_cselect_b32 s2, s18, s14
	s_load_dwordx2 s[8:9], s[4:5], 0xa8
	s_xor_b32 s2, s2, s15
	s_sub_i32 s2, s2, s15
	s_mul_i32 s1, s2, s1
	s_ashr_i32 s14, s1, 31
	v_lshrrev_b32_e32 v3, 3, v0
	s_add_u32 s1, s10, s1
	v_lshl_add_u32 v3, v1, 2, v3
	s_addc_u32 s10, s11, s14
	s_waitcnt lgkmcnt(0)
	s_mul_hi_u32 s11, s8, s33
	s_mul_i32 s0, s8, s0
	v_mul_lo_u32 v10, s25, v3
	s_add_i32 s0, s11, s0
	s_mul_i32 s9, s9, s33
	s_add_i32 s0, s0, s9
	s_mul_i32 s8, s8, s33
	s_add_u32 s8, s12, s8
	s_mul_i32 s2, s2, s39
	v_and_b32_e32 v11, 28, v9
	s_addc_u32 s0, s13, s0
	s_ashr_i32 s9, s2, 31
	v_mul_u32_u24_e32 v12, 0x90, v3
	v_lshlrev_b32_e32 v3, 2, v11
	v_ashrrev_i32_e32 v11, 31, v10
	s_add_u32 s2, s8, s2
	v_lshlrev_b64 v[10:11], 2, v[10:11]
	s_addc_u32 s8, s0, s9
	s_movk_i32 s9, 0x1800
	v_add3_u32 v19, v12, v3, s9
	v_mov_b32_e32 v12, s10
	v_add_co_u32_e32 v10, vcc, s1, v10
	v_addc_co_u32_e32 v11, vcc, v12, v11, vcc
	s_movk_i32 s0, 0x90
	v_add_co_u32_e32 v20, vcc, v10, v3
	v_mov_b32_e32 v3, 0x1800
	v_mad_u32_u24 v22, v0, s0, v3
	v_mad_u64_u32 v[3:4], s[0:1], v4, s3, v[0:1]
	v_mov_b32_e32 v4, 0x2a00
	v_lshl_add_u32 v23, v1, 7, v4
	v_lshrrev_b32_e32 v1, 4, v0
	v_add_u32_e32 v1, v1, v18
	v_mul_lo_u32 v10, s24, v1
	v_addc_co_u32_e32 v21, vcc, 0, v11, vcc
	v_and_b32_e32 v4, 60, v9
	v_ashrrev_i32_e32 v11, 31, v10
	v_lshlrev_b32_e32 v4, 2, v4
	v_lshlrev_b64 v[10:11], 2, v[10:11]
	v_lshl_or_b32 v1, v1, 8, v4
	v_add_u32_e32 v24, 0x1800, v1
	v_mov_b32_e32 v1, s8
	v_add_co_u32_e32 v10, vcc, s2, v10
	v_addc_co_u32_e32 v1, vcc, v1, v11, vcc
	v_add_co_u32_e32 v25, vcc, v10, v4
	v_mbcnt_hi_u32_b32 v10, -1, v2
	s_add_u32 s14, s4, 0xd0
	v_and_b32_e32 v2, 0x60, v10
	v_mov_b32_e32 v16, 0
	v_addc_co_u32_e32 v26, vcc, 0, v1, vcc
	s_addc_u32 s15, s5, 0
	v_mov_b32_e32 v1, 0xfeffffff
	v_mov_b32_e32 v32, 0
	;; [unrolled: 1-line block ×3, first 2 shown]
	v_add_u32_e32 v11, 32, v2
	v_xor_b32_e32 v17, 16, v10
	v_xor_b32_e32 v15, 8, v10
	;; [unrolled: 1-line block ×5, first 2 shown]
	s_mov_b32 s31, 0x3fb8aa3b
	s_mov_b32 s34, 0xc2ce8ed0
	;; [unrolled: 1-line block ×3, first 2 shown]
	v_mov_b32_e32 v28, 0x7f800000
	s_mov_b32 s36, 0x10001
	v_add_u32_e32 v29, v23, v9
	v_add_u32_e32 v30, 0x1800, v5
	;; [unrolled: 1-line block ×3, first 2 shown]
	v_mov_b32_e32 v33, 0
	v_mov_b32_e32 v35, 0
	v_mov_b32_e32 v34, 0
	v_mov_b32_e32 v2, 0xfeffffff
	v_mov_b32_e32 v18, 0
.LBB13_13:                              ; =>This Inner Loop Header: Depth=1
	s_mul_hi_i32 s1, s6, s25
	s_mul_i32 s0, s6, s25
	s_lshl_b64 s[0:1], s[0:1], 2
	v_mov_b32_e32 v4, s1
	v_add_co_u32_e32 v48, vcc, s0, v20
	v_addc_co_u32_e32 v49, vcc, v21, v4, vcc
	global_load_dwordx4 v[36:39], v[48:49], off
	v_mov_b32_e32 v4, 0
	v_mov_b32_e32 v5, 0
	v_cmp_lt_i32_e64 s[8:9], v17, v11
	v_cmp_lt_i32_e64 s[10:11], v15, v11
	v_cmp_lt_i32_e64 s[2:3], v14, v11
	v_cmp_lt_i32_e64 s[0:1], v13, v11
	v_cmp_lt_i32_e32 vcc, v12, v11
	s_mul_hi_i32 s19, s6, s24
	s_mul_i32 s18, s6, s24
	s_waitcnt vmcnt(0)
	ds_write_b128 v19, v[36:39]
	s_waitcnt lgkmcnt(0)
	s_barrier
	ds_read_b128 v[36:39], v22
	ds_read_b128 v[40:43], v6
	ds_read_b128 v[44:47], v6 offset:384
	s_waitcnt lgkmcnt(1)
	;;#ASMSTART
	v_dot2_f32_f16 v4, v36, v40, v4
	;;#ASMEND
	;;#ASMSTART
	v_dot2_f32_f16 v4, v37, v41, v4
	;;#ASMEND
	;;#ASMSTART
	v_dot2_f32_f16 v4, v38, v42, v4
	;;#ASMEND
	;;#ASMSTART
	v_dot2_f32_f16 v4, v39, v43, v4
	;;#ASMEND
	s_waitcnt lgkmcnt(0)
	;;#ASMSTART
	v_dot2_f32_f16 v5, v36, v44, v5
	;;#ASMEND
	;;#ASMSTART
	v_dot2_f32_f16 v5, v37, v45, v5
	;;#ASMEND
	;;#ASMSTART
	v_dot2_f32_f16 v5, v38, v46, v5
	;;#ASMEND
	;;#ASMSTART
	v_dot2_f32_f16 v5, v39, v47, v5
	;;#ASMEND
	ds_read_b128 v[36:39], v22 offset:16
	ds_read_b128 v[40:43], v6 offset:16
	ds_read_b128 v[44:47], v6 offset:400
	s_waitcnt lgkmcnt(1)
	;;#ASMSTART
	v_dot2_f32_f16 v4, v36, v40, v4
	;;#ASMEND
	;;#ASMSTART
	v_dot2_f32_f16 v4, v37, v41, v4
	;;#ASMEND
	;;#ASMSTART
	v_dot2_f32_f16 v4, v38, v42, v4
	;;#ASMEND
	;;#ASMSTART
	v_dot2_f32_f16 v4, v39, v43, v4
	;;#ASMEND
	s_waitcnt lgkmcnt(0)
	;;#ASMSTART
	v_dot2_f32_f16 v5, v36, v44, v5
	;;#ASMEND
	;;#ASMSTART
	v_dot2_f32_f16 v5, v37, v45, v5
	;;#ASMEND
	;;#ASMSTART
	v_dot2_f32_f16 v5, v38, v46, v5
	;;#ASMEND
	;;#ASMSTART
	v_dot2_f32_f16 v5, v39, v47, v5
	;;#ASMEND
	ds_read_b128 v[36:39], v22 offset:32
	ds_read_b128 v[40:43], v6 offset:32
	;; [unrolled: 29-line block ×7, first 2 shown]
	ds_read_b128 v[44:47], v6 offset:496
	s_waitcnt lgkmcnt(1)
	;;#ASMSTART
	v_dot2_f32_f16 v4, v36, v40, v4
	;;#ASMEND
	;;#ASMSTART
	v_dot2_f32_f16 v4, v37, v41, v4
	;;#ASMEND
	;; [unrolled: 3-line block ×4, first 2 shown]
	s_waitcnt lgkmcnt(0)
	;;#ASMSTART
	v_dot2_f32_f16 v5, v36, v44, v5
	;;#ASMEND
	;;#ASMSTART
	v_dot2_f32_f16 v5, v37, v45, v5
	;;#ASMEND
	;; [unrolled: 3-line block ×4, first 2 shown]
	s_barrier
	global_load_dwordx4 v[36:39], v[48:49], off offset:128
	s_waitcnt vmcnt(0)
	ds_write_b128 v19, v[36:39]
	s_waitcnt lgkmcnt(0)
	s_barrier
	ds_read_b128 v[36:39], v22
	ds_read_b128 v[40:43], v6 offset:128
	ds_read_b128 v[44:47], v6 offset:512
	s_waitcnt lgkmcnt(1)
	;;#ASMSTART
	v_dot2_f32_f16 v4, v36, v40, v4
	;;#ASMEND
	;;#ASMSTART
	v_dot2_f32_f16 v4, v37, v41, v4
	;;#ASMEND
	;;#ASMSTART
	v_dot2_f32_f16 v4, v38, v42, v4
	;;#ASMEND
	;;#ASMSTART
	v_dot2_f32_f16 v4, v39, v43, v4
	;;#ASMEND
	s_waitcnt lgkmcnt(0)
	;;#ASMSTART
	v_dot2_f32_f16 v5, v36, v44, v5
	;;#ASMEND
	;;#ASMSTART
	v_dot2_f32_f16 v5, v37, v45, v5
	;;#ASMEND
	;;#ASMSTART
	v_dot2_f32_f16 v5, v38, v46, v5
	;;#ASMEND
	;;#ASMSTART
	v_dot2_f32_f16 v5, v39, v47, v5
	;;#ASMEND
	ds_read_b128 v[36:39], v22 offset:16
	ds_read_b128 v[40:43], v6 offset:144
	ds_read_b128 v[44:47], v6 offset:528
	s_waitcnt lgkmcnt(1)
	;;#ASMSTART
	v_dot2_f32_f16 v4, v36, v40, v4
	;;#ASMEND
	;;#ASMSTART
	v_dot2_f32_f16 v4, v37, v41, v4
	;;#ASMEND
	;;#ASMSTART
	v_dot2_f32_f16 v4, v38, v42, v4
	;;#ASMEND
	;;#ASMSTART
	v_dot2_f32_f16 v4, v39, v43, v4
	;;#ASMEND
	s_waitcnt lgkmcnt(0)
	;;#ASMSTART
	v_dot2_f32_f16 v5, v36, v44, v5
	;;#ASMEND
	;;#ASMSTART
	v_dot2_f32_f16 v5, v37, v45, v5
	;;#ASMEND
	;;#ASMSTART
	v_dot2_f32_f16 v5, v38, v46, v5
	;;#ASMEND
	;;#ASMSTART
	v_dot2_f32_f16 v5, v39, v47, v5
	;;#ASMEND
	ds_read_b128 v[36:39], v22 offset:32
	;; [unrolled: 29-line block ×7, first 2 shown]
	ds_read_b128 v[40:43], v6 offset:240
	ds_read_b128 v[44:47], v6 offset:624
	s_waitcnt lgkmcnt(1)
	;;#ASMSTART
	v_dot2_f32_f16 v4, v36, v40, v4
	;;#ASMEND
	;;#ASMSTART
	v_dot2_f32_f16 v4, v37, v41, v4
	;;#ASMEND
	;; [unrolled: 3-line block ×4, first 2 shown]
	s_waitcnt lgkmcnt(0)
	;;#ASMSTART
	v_dot2_f32_f16 v5, v36, v44, v5
	;;#ASMEND
	;;#ASMSTART
	v_dot2_f32_f16 v5, v37, v45, v5
	;;#ASMEND
	;;#ASMSTART
	v_dot2_f32_f16 v5, v38, v46, v5
	;;#ASMEND
	;;#ASMSTART
	v_dot2_f32_f16 v5, v39, v47, v5
	;;#ASMEND
	s_barrier
	global_load_dwordx4 v[36:39], v[48:49], off offset:256
	s_waitcnt vmcnt(0)
	ds_write_b128 v19, v[36:39]
	s_waitcnt lgkmcnt(0)
	s_barrier
	ds_read_b128 v[36:39], v22
	ds_read_b128 v[40:43], v6 offset:256
	ds_read_b128 v[44:47], v6 offset:640
	s_waitcnt lgkmcnt(1)
	;;#ASMSTART
	v_dot2_f32_f16 v4, v36, v40, v4
	;;#ASMEND
	;;#ASMSTART
	v_dot2_f32_f16 v4, v37, v41, v4
	;;#ASMEND
	;;#ASMSTART
	v_dot2_f32_f16 v4, v38, v42, v4
	;;#ASMEND
	;;#ASMSTART
	v_dot2_f32_f16 v4, v39, v43, v4
	;;#ASMEND
	s_waitcnt lgkmcnt(0)
	;;#ASMSTART
	v_dot2_f32_f16 v5, v36, v44, v5
	;;#ASMEND
	;;#ASMSTART
	v_dot2_f32_f16 v5, v37, v45, v5
	;;#ASMEND
	;;#ASMSTART
	v_dot2_f32_f16 v5, v38, v46, v5
	;;#ASMEND
	;;#ASMSTART
	v_dot2_f32_f16 v5, v39, v47, v5
	;;#ASMEND
	ds_read_b128 v[36:39], v22 offset:16
	ds_read_b128 v[40:43], v6 offset:272
	ds_read_b128 v[44:47], v6 offset:656
	s_waitcnt lgkmcnt(1)
	;;#ASMSTART
	v_dot2_f32_f16 v4, v36, v40, v4
	;;#ASMEND
	;;#ASMSTART
	v_dot2_f32_f16 v4, v37, v41, v4
	;;#ASMEND
	;;#ASMSTART
	v_dot2_f32_f16 v4, v38, v42, v4
	;;#ASMEND
	;;#ASMSTART
	v_dot2_f32_f16 v4, v39, v43, v4
	;;#ASMEND
	s_waitcnt lgkmcnt(0)
	;;#ASMSTART
	v_dot2_f32_f16 v5, v36, v44, v5
	;;#ASMEND
	;;#ASMSTART
	v_dot2_f32_f16 v5, v37, v45, v5
	;;#ASMEND
	;;#ASMSTART
	v_dot2_f32_f16 v5, v38, v46, v5
	;;#ASMEND
	;;#ASMSTART
	v_dot2_f32_f16 v5, v39, v47, v5
	;;#ASMEND
	ds_read_b128 v[36:39], v22 offset:32
	;; [unrolled: 29-line block ×7, first 2 shown]
	ds_read_b128 v[40:43], v6 offset:368
	ds_read_b128 v[44:47], v6 offset:752
	s_waitcnt lgkmcnt(1)
	;;#ASMSTART
	v_dot2_f32_f16 v4, v36, v40, v4
	;;#ASMEND
	;;#ASMSTART
	v_dot2_f32_f16 v4, v37, v41, v4
	;;#ASMEND
	;; [unrolled: 3-line block ×4, first 2 shown]
	s_waitcnt lgkmcnt(0)
	;;#ASMSTART
	v_dot2_f32_f16 v5, v36, v44, v5
	;;#ASMEND
	;;#ASMSTART
	v_dot2_f32_f16 v5, v37, v45, v5
	;;#ASMEND
	;; [unrolled: 3-line block ×4, first 2 shown]
	v_mov_b32_e32 v39, v1
	v_add_u32_e32 v1, s6, v3
	v_mov_b32_e32 v38, v2
	v_ashrrev_i32_e32 v2, 31, v1
	v_lshlrev_b64 v[1:2], 1, v[1:2]
	v_cndmask_b32_e64 v36, v10, v17, s[8:9]
	v_add_co_u32_e64 v1, s[12:13], s30, v1
	v_addc_co_u32_e64 v2, s[12:13], v27, v2, s[12:13]
	global_load_ushort v1, v[1:2], off
	v_max_f32_e32 v37, v39, v39
	v_max_f32_e32 v2, v38, v38
	v_lshlrev_b32_e32 v36, 2, v36
	s_waitcnt vmcnt(0)
	s_barrier
	v_cvt_f32_f16_e32 v1, v1
	v_add_f32_e32 v40, v4, v1
	v_add_f32_e32 v41, v5, v1
	;; [unrolled: 1-line block ×3, first 2 shown]
	v_max_f32_e32 v1, v37, v1
	v_add_f32_e32 v4, 0x40051340, v41
	v_max_f32_e32 v2, v2, v4
	ds_bpermute_b32 v4, v36, v1
	ds_bpermute_b32 v5, v36, v2
	s_waitcnt lgkmcnt(1)
	v_max_f32_e32 v4, v4, v4
	v_max_f32_e32 v1, v1, v4
	v_cndmask_b32_e64 v4, v10, v15, s[10:11]
	v_lshlrev_b32_e32 v4, 2, v4
	s_waitcnt lgkmcnt(0)
	v_max_f32_e32 v5, v5, v5
	v_max_f32_e32 v2, v2, v5
	ds_bpermute_b32 v5, v4, v1
	ds_bpermute_b32 v4, v4, v2
	s_waitcnt lgkmcnt(1)
	v_max_f32_e32 v5, v5, v5
	v_max_f32_e32 v1, v1, v5
	v_cndmask_b32_e64 v5, v10, v14, s[2:3]
	v_lshlrev_b32_e32 v5, 2, v5
	s_waitcnt lgkmcnt(0)
	v_max_f32_e32 v4, v4, v4
	v_max_f32_e32 v2, v2, v4
	ds_bpermute_b32 v4, v5, v1
	ds_bpermute_b32 v5, v5, v2
	s_waitcnt lgkmcnt(1)
	v_max_f32_e32 v4, v4, v4
	v_max_f32_e32 v1, v1, v4
	v_cndmask_b32_e64 v4, v10, v13, s[0:1]
	v_lshlrev_b32_e32 v4, 2, v4
	s_waitcnt lgkmcnt(0)
	v_max_f32_e32 v5, v5, v5
	v_max_f32_e32 v2, v2, v5
	ds_bpermute_b32 v5, v4, v1
	ds_bpermute_b32 v4, v4, v2
	s_lshl_b64 s[0:1], s[18:19], 2
	s_waitcnt lgkmcnt(1)
	v_max_f32_e32 v5, v5, v5
	v_max_f32_e32 v1, v1, v5
	v_cndmask_b32_e32 v5, v10, v12, vcc
	v_lshlrev_b32_e32 v5, 2, v5
	s_waitcnt lgkmcnt(0)
	v_max_f32_e32 v4, v4, v4
	v_max_f32_e32 v2, v2, v4
	ds_bpermute_b32 v4, v5, v1
	ds_bpermute_b32 v5, v5, v2
	s_waitcnt lgkmcnt(1)
	v_max_f32_e32 v4, v4, v4
	v_max_f32_e32 v1, v1, v4
	s_waitcnt lgkmcnt(0)
	v_max_f32_e32 v5, v5, v5
	v_sub_f32_e32 v36, v40, v1
	v_max_f32_e32 v2, v2, v5
	v_mov_b32_e32 v5, s1
	v_add_co_u32_e32 v4, vcc, s0, v25
	v_mul_f32_e32 v37, 0x3fb8aa3b, v36
	v_addc_co_u32_e32 v5, vcc, v26, v5, vcc
	v_fma_f32 v40, v36, s31, -v37
	v_cmp_ngt_f32_e64 s[0:1], s34, v36
	v_cmp_nlt_f32_e32 vcc, s35, v36
	v_fmac_f32_e32 v40, 0x32a5705f, v36
	v_sub_f32_e32 v36, v41, v2
	v_mul_f32_e32 v41, 0x3fb8aa3b, v36
	v_fma_f32 v42, v36, s31, -v41
	v_cmp_ngt_f32_e64 s[8:9], s34, v36
	v_cmp_nlt_f32_e64 s[2:3], s35, v36
	v_fmac_f32_e32 v42, 0x32a5705f, v36
	v_rndne_f32_e32 v36, v37
	v_sub_f32_e32 v37, v37, v36
	v_add_f32_e32 v37, v37, v40
	v_cvt_i32_f32_e32 v36, v36
	v_exp_f32_e32 v37, v37
	v_rndne_f32_e32 v40, v41
	v_sub_f32_e32 v41, v41, v40
	v_add_f32_e32 v41, v41, v42
	v_ldexp_f32 v37, v37, v36
	v_cvt_i32_f32_e32 v36, v40
	v_exp_f32_e32 v40, v41
	v_ldexp_f32 v40, v40, v36
	v_mov_b32_e32 v36, v16
	v_cndmask_b32_e64 v16, 0, v37, s[0:1]
	v_cndmask_b32_e64 v37, 0, v40, s[8:9]
	v_cndmask_b32_e32 v16, v28, v16, vcc
	v_cndmask_b32_e64 v37, v28, v37, s[2:3]
	v_cvt_f16_f32_e32 v40, v16
	v_cvt_f16_f32_e32 v41, v37
	v_pack_b32_f16 v40, v40, v41
	ds_write_b32 v29, v40
	global_load_dwordx4 v[40:43], v[4:5], off
	v_sub_f32_e32 v4, v39, v1
	v_sub_f32_e32 v5, v38, v2
	v_mul_f32_e32 v38, 0x3fb8aa3b, v4
	v_fma_f32 v39, v4, s31, -v38
	v_cmp_ngt_f32_e32 vcc, s34, v4
	v_cmp_nlt_f32_e64 s[0:1], s35, v4
	v_fmac_f32_e32 v39, 0x32a5705f, v4
	v_mul_f32_e32 v4, 0x3fb8aa3b, v5
	v_cmp_ngt_f32_e64 s[2:3], s34, v5
	v_cmp_nlt_f32_e64 s[8:9], s35, v5
	s_waitcnt vmcnt(0)
	ds_write_b128 v24, v[40:43]
	v_fma_f32 v40, v5, s31, -v4
	v_fmac_f32_e32 v40, 0x32a5705f, v5
	v_rndne_f32_e32 v5, v38
	v_sub_f32_e32 v38, v38, v5
	v_add_f32_e32 v38, v38, v39
	v_rndne_f32_e32 v39, v4
	v_sub_f32_e32 v4, v4, v39
	v_add_f32_e32 v4, v4, v40
	v_cvt_i32_f32_e32 v5, v5
	v_exp_f32_e32 v38, v38
	v_cvt_i32_f32_e32 v39, v39
	v_exp_f32_e32 v4, v4
	s_waitcnt lgkmcnt(0)
	v_ldexp_f32 v5, v38, v5
	v_cndmask_b32_e32 v5, 0, v5, vcc
	v_ldexp_f32 v4, v4, v39
	s_barrier
	ds_read_b128 v[39:42], v23
	v_cndmask_b32_e64 v38, v28, v5, s[0:1]
	ds_read2_b64 v[43:46], v30 offset1:32
	v_cvt_f16_f32_e32 v5, v38
	v_cndmask_b32_e64 v4, 0, v4, s[2:3]
	s_waitcnt lgkmcnt(1)
	v_mul_u32_u24_sdwa v47, v39, s36 dst_sel:DWORD dst_unused:UNUSED_PAD src0_sel:WORD_0 src1_sel:DWORD
	s_or_b32 s0, s6, 16
	v_mul_u32_u24_e32 v5, 0x10001, v5
	s_waitcnt lgkmcnt(0)
	v_pk_mul_f16 v48, v43, v47
	v_pk_fma_f16 v48, v34, v5, v48
	v_cndmask_b32_e64 v34, v28, v4, s[8:9]
	v_cvt_f16_f32_e32 v4, v34
	v_pk_mul_f16 v5, v35, v5
	v_mul_u32_u24_sdwa v35, v39, s36 dst_sel:DWORD dst_unused:UNUSED_PAD src0_sel:WORD_1 src1_sel:DWORD
	v_pk_mul_f16 v39, v43, v35
	v_mul_u32_u24_e32 v4, 0x10001, v4
	v_pk_fma_f16 v33, v33, v4, v39
	v_pk_mul_f16 v4, v32, v4
	v_pk_fma_f16 v5, v44, v47, v5
	v_pk_fma_f16 v4, v44, v35, v4
	v_mul_u32_u24_sdwa v32, v40, s36 dst_sel:DWORD dst_unused:UNUSED_PAD src0_sel:WORD_0 src1_sel:DWORD
	v_mul_u32_u24_sdwa v35, v40, s36 dst_sel:DWORD dst_unused:UNUSED_PAD src0_sel:WORD_1 src1_sel:DWORD
	v_pk_fma_f16 v5, v46, v32, v5
	v_pk_fma_f16 v32, v45, v32, v48
	;; [unrolled: 1-line block ×4, first 2 shown]
	v_mul_u32_u24_sdwa v35, v41, s36 dst_sel:DWORD dst_unused:UNUSED_PAD src0_sel:WORD_0 src1_sel:DWORD
	v_mul_u32_u24_sdwa v43, v41, s36 dst_sel:DWORD dst_unused:UNUSED_PAD src0_sel:WORD_1 src1_sel:DWORD
	v_mul_u32_u24_sdwa v44, v42, s36 dst_sel:DWORD dst_unused:UNUSED_PAD src0_sel:WORD_0 src1_sel:DWORD
	v_mul_u32_u24_sdwa v45, v42, s36 dst_sel:DWORD dst_unused:UNUSED_PAD src0_sel:WORD_1 src1_sel:DWORD
	ds_read2_b64 v[39:42], v30 offset0:64 offset1:96
	s_mul_hi_i32 s1, s0, s24
	s_mul_i32 s0, s0, s24
	s_lshl_b64 s[0:1], s[0:1], 2
	v_fmac_f32_e32 v16, v36, v38
	s_waitcnt lgkmcnt(0)
	v_pk_fma_f16 v5, v40, v35, v5
	v_pk_fma_f16 v32, v39, v35, v32
	;; [unrolled: 1-line block ×8, first 2 shown]
	ds_read_b128 v[39:42], v23 offset:16
	ds_read2_b64 v[43:46], v30 offset0:128 offset1:160
	s_waitcnt lgkmcnt(1)
	v_mul_u32_u24_sdwa v35, v39, s36 dst_sel:DWORD dst_unused:UNUSED_PAD src0_sel:WORD_0 src1_sel:DWORD
	s_waitcnt lgkmcnt(0)
	v_pk_fma_f16 v5, v44, v35, v5
	v_pk_fma_f16 v32, v43, v35, v32
	v_mul_u32_u24_sdwa v35, v39, s36 dst_sel:DWORD dst_unused:UNUSED_PAD src0_sel:WORD_1 src1_sel:DWORD
	v_pk_fma_f16 v4, v44, v35, v4
	v_pk_fma_f16 v33, v43, v35, v33
	v_mul_u32_u24_sdwa v35, v40, s36 dst_sel:DWORD dst_unused:UNUSED_PAD src0_sel:WORD_0 src1_sel:DWORD
	v_pk_fma_f16 v5, v46, v35, v5
	v_pk_fma_f16 v32, v45, v35, v32
	v_mul_u32_u24_sdwa v35, v40, s36 dst_sel:DWORD dst_unused:UNUSED_PAD src0_sel:WORD_1 src1_sel:DWORD
	v_pk_fma_f16 v4, v46, v35, v4
	v_pk_fma_f16 v33, v45, v35, v33
	v_mul_u32_u24_sdwa v35, v41, s36 dst_sel:DWORD dst_unused:UNUSED_PAD src0_sel:WORD_0 src1_sel:DWORD
	v_mul_u32_u24_sdwa v43, v41, s36 dst_sel:DWORD dst_unused:UNUSED_PAD src0_sel:WORD_1 src1_sel:DWORD
	v_mul_u32_u24_sdwa v44, v42, s36 dst_sel:DWORD dst_unused:UNUSED_PAD src0_sel:WORD_0 src1_sel:DWORD
	v_mul_u32_u24_sdwa v45, v42, s36 dst_sel:DWORD dst_unused:UNUSED_PAD src0_sel:WORD_1 src1_sel:DWORD
	ds_read2_b64 v[39:42], v30 offset0:192 offset1:224
	s_waitcnt lgkmcnt(0)
	v_pk_fma_f16 v5, v40, v35, v5
	v_pk_fma_f16 v32, v39, v35, v32
	v_pk_fma_f16 v4, v40, v43, v4
	v_pk_fma_f16 v33, v39, v43, v33
	v_pk_fma_f16 v5, v42, v44, v5
	v_pk_fma_f16 v32, v41, v44, v32
	v_pk_fma_f16 v4, v42, v45, v4
	v_pk_fma_f16 v33, v41, v45, v33
	ds_read_b128 v[39:42], v23 offset:32
	ds_read2_b64 v[43:46], v31 offset1:32
	s_waitcnt lgkmcnt(1)
	v_mul_u32_u24_sdwa v35, v39, s36 dst_sel:DWORD dst_unused:UNUSED_PAD src0_sel:WORD_0 src1_sel:DWORD
	s_waitcnt lgkmcnt(0)
	v_pk_fma_f16 v5, v44, v35, v5
	v_pk_fma_f16 v32, v43, v35, v32
	v_mul_u32_u24_sdwa v35, v39, s36 dst_sel:DWORD dst_unused:UNUSED_PAD src0_sel:WORD_1 src1_sel:DWORD
	v_pk_fma_f16 v4, v44, v35, v4
	v_pk_fma_f16 v33, v43, v35, v33
	v_mul_u32_u24_sdwa v35, v40, s36 dst_sel:DWORD dst_unused:UNUSED_PAD src0_sel:WORD_0 src1_sel:DWORD
	v_pk_fma_f16 v5, v46, v35, v5
	v_pk_fma_f16 v32, v45, v35, v32
	v_mul_u32_u24_sdwa v35, v40, s36 dst_sel:DWORD dst_unused:UNUSED_PAD src0_sel:WORD_1 src1_sel:DWORD
	v_pk_fma_f16 v4, v46, v35, v4
	v_pk_fma_f16 v33, v45, v35, v33
	v_mul_u32_u24_sdwa v35, v41, s36 dst_sel:DWORD dst_unused:UNUSED_PAD src0_sel:WORD_0 src1_sel:DWORD
	v_mul_u32_u24_sdwa v43, v41, s36 dst_sel:DWORD dst_unused:UNUSED_PAD src0_sel:WORD_1 src1_sel:DWORD
	v_mul_u32_u24_sdwa v44, v42, s36 dst_sel:DWORD dst_unused:UNUSED_PAD src0_sel:WORD_0 src1_sel:DWORD
	v_mul_u32_u24_sdwa v45, v42, s36 dst_sel:DWORD dst_unused:UNUSED_PAD src0_sel:WORD_1 src1_sel:DWORD
	ds_read2_b64 v[39:42], v31 offset0:64 offset1:96
	s_waitcnt lgkmcnt(0)
	v_pk_fma_f16 v5, v40, v35, v5
	v_pk_fma_f16 v32, v39, v35, v32
	;; [unrolled: 1-line block ×8, first 2 shown]
	ds_read_b128 v[39:42], v23 offset:48
	ds_read2_b64 v[43:46], v31 offset0:128 offset1:160
	s_waitcnt lgkmcnt(1)
	v_mul_u32_u24_sdwa v35, v39, s36 dst_sel:DWORD dst_unused:UNUSED_PAD src0_sel:WORD_0 src1_sel:DWORD
	s_waitcnt lgkmcnt(0)
	v_pk_fma_f16 v5, v44, v35, v5
	v_pk_fma_f16 v32, v43, v35, v32
	v_mul_u32_u24_sdwa v35, v39, s36 dst_sel:DWORD dst_unused:UNUSED_PAD src0_sel:WORD_1 src1_sel:DWORD
	v_pk_fma_f16 v4, v44, v35, v4
	v_pk_fma_f16 v33, v43, v35, v33
	v_mul_u32_u24_sdwa v35, v40, s36 dst_sel:DWORD dst_unused:UNUSED_PAD src0_sel:WORD_0 src1_sel:DWORD
	v_pk_fma_f16 v5, v46, v35, v5
	v_pk_fma_f16 v32, v45, v35, v32
	v_mul_u32_u24_sdwa v35, v40, s36 dst_sel:DWORD dst_unused:UNUSED_PAD src0_sel:WORD_1 src1_sel:DWORD
	v_pk_fma_f16 v4, v46, v35, v4
	v_pk_fma_f16 v33, v45, v35, v33
	v_mul_u32_u24_sdwa v35, v41, s36 dst_sel:DWORD dst_unused:UNUSED_PAD src0_sel:WORD_0 src1_sel:DWORD
	v_mul_u32_u24_sdwa v43, v41, s36 dst_sel:DWORD dst_unused:UNUSED_PAD src0_sel:WORD_1 src1_sel:DWORD
	v_mul_u32_u24_sdwa v44, v42, s36 dst_sel:DWORD dst_unused:UNUSED_PAD src0_sel:WORD_0 src1_sel:DWORD
	v_mul_u32_u24_sdwa v45, v42, s36 dst_sel:DWORD dst_unused:UNUSED_PAD src0_sel:WORD_1 src1_sel:DWORD
	ds_read2_b64 v[39:42], v31 offset0:192 offset1:224
	s_waitcnt lgkmcnt(0)
	s_barrier
	v_pk_fma_f16 v5, v40, v35, v5
	v_pk_fma_f16 v32, v39, v35, v32
	;; [unrolled: 1-line block ×7, first 2 shown]
	v_mov_b32_e32 v5, s1
	v_add_co_u32_e32 v4, vcc, s0, v25
	v_addc_co_u32_e32 v5, vcc, v26, v5, vcc
	v_pk_fma_f16 v35, v41, v45, v35
	global_load_dwordx4 v[40:43], v[4:5], off
	s_waitcnt vmcnt(0)
	ds_write_b128 v24, v[40:43]
	s_waitcnt lgkmcnt(0)
	s_barrier
	ds_read_b128 v[40:43], v23 offset:64
	ds_read2_b64 v[44:47], v30 offset1:32
	s_waitcnt lgkmcnt(1)
	v_mul_u32_u24_sdwa v4, v40, s36 dst_sel:DWORD dst_unused:UNUSED_PAD src0_sel:WORD_0 src1_sel:DWORD
	s_waitcnt lgkmcnt(0)
	v_pk_fma_f16 v5, v44, v4, v39
	v_pk_fma_f16 v4, v45, v4, v33
	v_mul_u32_u24_sdwa v33, v40, s36 dst_sel:DWORD dst_unused:UNUSED_PAD src0_sel:WORD_1 src1_sel:DWORD
	v_pk_fma_f16 v35, v44, v33, v35
	v_pk_fma_f16 v32, v45, v33, v32
	v_mul_u32_u24_sdwa v33, v41, s36 dst_sel:DWORD dst_unused:UNUSED_PAD src0_sel:WORD_0 src1_sel:DWORD
	v_pk_fma_f16 v5, v46, v33, v5
	v_pk_fma_f16 v4, v47, v33, v4
	v_mul_u32_u24_sdwa v33, v41, s36 dst_sel:DWORD dst_unused:UNUSED_PAD src0_sel:WORD_1 src1_sel:DWORD
	v_pk_fma_f16 v35, v46, v33, v35
	v_pk_fma_f16 v32, v47, v33, v32
	v_mul_u32_u24_sdwa v33, v42, s36 dst_sel:DWORD dst_unused:UNUSED_PAD src0_sel:WORD_0 src1_sel:DWORD
	v_mul_u32_u24_sdwa v44, v42, s36 dst_sel:DWORD dst_unused:UNUSED_PAD src0_sel:WORD_1 src1_sel:DWORD
	ds_read2_b64 v[39:42], v30 offset0:64 offset1:96
	v_mul_u32_u24_sdwa v45, v43, s36 dst_sel:DWORD dst_unused:UNUSED_PAD src0_sel:WORD_0 src1_sel:DWORD
	v_mul_u32_u24_sdwa v43, v43, s36 dst_sel:DWORD dst_unused:UNUSED_PAD src0_sel:WORD_1 src1_sel:DWORD
	s_waitcnt lgkmcnt(0)
	v_pk_fma_f16 v5, v39, v33, v5
	v_pk_fma_f16 v4, v40, v33, v4
	;; [unrolled: 1-line block ×8, first 2 shown]
	ds_read_b128 v[39:42], v23 offset:80
	ds_read2_b64 v[43:46], v30 offset0:128 offset1:160
	s_waitcnt lgkmcnt(1)
	v_mul_u32_u24_sdwa v35, v39, s36 dst_sel:DWORD dst_unused:UNUSED_PAD src0_sel:WORD_0 src1_sel:DWORD
	s_waitcnt lgkmcnt(0)
	v_pk_fma_f16 v5, v43, v35, v5
	v_pk_fma_f16 v4, v44, v35, v4
	v_mul_u32_u24_sdwa v35, v39, s36 dst_sel:DWORD dst_unused:UNUSED_PAD src0_sel:WORD_1 src1_sel:DWORD
	v_pk_fma_f16 v33, v43, v35, v33
	v_pk_fma_f16 v32, v44, v35, v32
	v_mul_u32_u24_sdwa v35, v40, s36 dst_sel:DWORD dst_unused:UNUSED_PAD src0_sel:WORD_0 src1_sel:DWORD
	v_pk_fma_f16 v5, v45, v35, v5
	v_pk_fma_f16 v4, v46, v35, v4
	v_mul_u32_u24_sdwa v35, v40, s36 dst_sel:DWORD dst_unused:UNUSED_PAD src0_sel:WORD_1 src1_sel:DWORD
	v_pk_fma_f16 v33, v45, v35, v33
	v_pk_fma_f16 v32, v46, v35, v32
	v_mul_u32_u24_sdwa v35, v41, s36 dst_sel:DWORD dst_unused:UNUSED_PAD src0_sel:WORD_0 src1_sel:DWORD
	v_mul_u32_u24_sdwa v43, v41, s36 dst_sel:DWORD dst_unused:UNUSED_PAD src0_sel:WORD_1 src1_sel:DWORD
	v_mul_u32_u24_sdwa v44, v42, s36 dst_sel:DWORD dst_unused:UNUSED_PAD src0_sel:WORD_0 src1_sel:DWORD
	v_mul_u32_u24_sdwa v45, v42, s36 dst_sel:DWORD dst_unused:UNUSED_PAD src0_sel:WORD_1 src1_sel:DWORD
	ds_read2_b64 v[39:42], v30 offset0:192 offset1:224
	s_waitcnt lgkmcnt(0)
	v_pk_fma_f16 v5, v39, v35, v5
	v_pk_fma_f16 v4, v40, v35, v4
	;; [unrolled: 1-line block ×8, first 2 shown]
	ds_read_b128 v[39:42], v23 offset:96
	ds_read2_b64 v[43:46], v31 offset1:32
	s_waitcnt lgkmcnt(1)
	v_mul_u32_u24_sdwa v35, v39, s36 dst_sel:DWORD dst_unused:UNUSED_PAD src0_sel:WORD_0 src1_sel:DWORD
	s_waitcnt lgkmcnt(0)
	v_pk_fma_f16 v5, v43, v35, v5
	v_pk_fma_f16 v4, v44, v35, v4
	v_mul_u32_u24_sdwa v35, v39, s36 dst_sel:DWORD dst_unused:UNUSED_PAD src0_sel:WORD_1 src1_sel:DWORD
	v_pk_fma_f16 v33, v43, v35, v33
	v_pk_fma_f16 v32, v44, v35, v32
	v_mul_u32_u24_sdwa v35, v40, s36 dst_sel:DWORD dst_unused:UNUSED_PAD src0_sel:WORD_0 src1_sel:DWORD
	v_pk_fma_f16 v5, v45, v35, v5
	v_pk_fma_f16 v4, v46, v35, v4
	v_mul_u32_u24_sdwa v35, v40, s36 dst_sel:DWORD dst_unused:UNUSED_PAD src0_sel:WORD_1 src1_sel:DWORD
	v_pk_fma_f16 v33, v45, v35, v33
	v_pk_fma_f16 v32, v46, v35, v32
	v_mul_u32_u24_sdwa v35, v41, s36 dst_sel:DWORD dst_unused:UNUSED_PAD src0_sel:WORD_0 src1_sel:DWORD
	v_mul_u32_u24_sdwa v43, v41, s36 dst_sel:DWORD dst_unused:UNUSED_PAD src0_sel:WORD_1 src1_sel:DWORD
	v_mul_u32_u24_sdwa v44, v42, s36 dst_sel:DWORD dst_unused:UNUSED_PAD src0_sel:WORD_0 src1_sel:DWORD
	v_mul_u32_u24_sdwa v45, v42, s36 dst_sel:DWORD dst_unused:UNUSED_PAD src0_sel:WORD_1 src1_sel:DWORD
	ds_read2_b64 v[39:42], v31 offset0:64 offset1:96
	s_waitcnt lgkmcnt(0)
	v_pk_fma_f16 v5, v39, v35, v5
	v_pk_fma_f16 v4, v40, v35, v4
	;; [unrolled: 1-line block ×8, first 2 shown]
	ds_read_b128 v[39:42], v23 offset:112
	ds_read2_b64 v[43:46], v31 offset0:128 offset1:160
	s_waitcnt lgkmcnt(1)
	v_mul_u32_u24_sdwa v35, v39, s36 dst_sel:DWORD dst_unused:UNUSED_PAD src0_sel:WORD_0 src1_sel:DWORD
	s_waitcnt lgkmcnt(0)
	v_pk_fma_f16 v5, v43, v35, v5
	v_pk_fma_f16 v4, v44, v35, v4
	v_mul_u32_u24_sdwa v35, v39, s36 dst_sel:DWORD dst_unused:UNUSED_PAD src0_sel:WORD_1 src1_sel:DWORD
	v_pk_fma_f16 v33, v43, v35, v33
	v_pk_fma_f16 v32, v44, v35, v32
	v_mul_u32_u24_sdwa v35, v40, s36 dst_sel:DWORD dst_unused:UNUSED_PAD src0_sel:WORD_0 src1_sel:DWORD
	v_pk_fma_f16 v5, v45, v35, v5
	v_pk_fma_f16 v4, v46, v35, v4
	v_mul_u32_u24_sdwa v35, v40, s36 dst_sel:DWORD dst_unused:UNUSED_PAD src0_sel:WORD_1 src1_sel:DWORD
	v_pk_fma_f16 v39, v45, v35, v33
	v_mov_b32_e32 v33, v18
	v_mov_b32_e32 v18, v37
	v_pk_fma_f16 v32, v46, v35, v32
	v_fmac_f32_e32 v18, v33, v34
	ds_read2_b64 v[33:36], v31 offset0:192 offset1:224
	s_waitcnt lgkmcnt(0)
	s_barrier
	s_load_dword s0, s[14:15], 0x4
	v_mul_u32_u24_sdwa v40, v41, s36 dst_sel:DWORD dst_unused:UNUSED_PAD src0_sel:WORD_0 src1_sel:DWORD
	v_mul_u32_u24_sdwa v41, v41, s36 dst_sel:DWORD dst_unused:UNUSED_PAD src0_sel:WORD_1 src1_sel:DWORD
	v_mul_u32_u24_sdwa v43, v42, s36 dst_sel:DWORD dst_unused:UNUSED_PAD src0_sel:WORD_0 src1_sel:DWORD
	v_mul_u32_u24_sdwa v42, v42, s36 dst_sel:DWORD dst_unused:UNUSED_PAD src0_sel:WORD_1 src1_sel:DWORD
	s_waitcnt lgkmcnt(0)
	s_lshl_b32 s0, s0, 5
	v_pk_fma_f16 v5, v33, v40, v5
	v_pk_fma_f16 v4, v34, v40, v4
	;; [unrolled: 1-line block ×4, first 2 shown]
	s_add_i32 s6, s0, s6
	s_cmp_ge_i32 s6, s28
	v_pk_fma_f16 v34, v35, v43, v5
	v_pk_fma_f16 v33, v35, v42, v33
	;; [unrolled: 1-line block ×4, first 2 shown]
	s_cbranch_scc0 .LBB13_13
.LBB13_14:
	v_cmp_lt_i32_e32 vcc, v17, v11
	v_cndmask_b32_e32 v3, v10, v17, vcc
	v_lshlrev_b32_e32 v3, 2, v3
	ds_bpermute_b32 v4, v3, v16
	ds_bpermute_b32 v3, v3, v18
	v_cmp_lt_i32_e32 vcc, v15, v11
	v_cndmask_b32_e32 v5, v10, v15, vcc
	v_lshlrev_b32_e32 v5, 2, v5
	s_waitcnt lgkmcnt(1)
	v_add_f32_e32 v4, v16, v4
	s_waitcnt lgkmcnt(0)
	v_add_f32_e32 v3, v18, v3
	ds_bpermute_b32 v6, v5, v4
	ds_bpermute_b32 v5, v5, v3
	v_cmp_lt_i32_e32 vcc, v14, v11
	v_cndmask_b32_e32 v14, v10, v14, vcc
	v_lshlrev_b32_e32 v14, 2, v14
	s_waitcnt lgkmcnt(1)
	v_add_f32_e32 v4, v4, v6
	s_waitcnt lgkmcnt(0)
	v_add_f32_e32 v3, v3, v5
	;; [unrolled: 9-line block ×4, first 2 shown]
	ds_bpermute_b32 v6, v10, v4
	ds_bpermute_b32 v10, v10, v5
	s_cmp_lg_u64 s[16:17], 0
	s_cselect_b64 s[0:1], -1, 0
	s_cmp_eq_u32 s7, 0
	s_cselect_b64 s[2:3], -1, 0
	s_and_b64 s[0:1], s[2:3], s[0:1]
	s_waitcnt lgkmcnt(1)
	v_add_f32_e32 v3, v4, v6
	s_waitcnt lgkmcnt(0)
	v_add_f32_e32 v4, v5, v10
	s_and_b64 vcc, exec, s[0:1]
	s_cbranch_vccz .LBB13_17
; %bb.15:
	v_add_u32_e32 v5, s29, v8
	v_ashrrev_i32_e32 v6, 31, v5
	v_lshlrev_b64 v[5:6], 2, v[5:6]
	v_mov_b32_e32 v10, s17
	v_add_co_u32_e32 v5, vcc, s16, v5
	v_addc_co_u32_e32 v6, vcc, v10, v6, vcc
	global_load_dwordx2 v[5:6], v[5:6], off
	v_max_f32_e32 v10, v1, v1
	v_max_f32_e32 v11, v2, v2
	s_mov_b32 s0, 0x3fb8aa3b
	s_mov_b32 s1, 0xc2ce8ed0
	;; [unrolled: 1-line block ×3, first 2 shown]
	v_mov_b32_e32 v12, 0x7f800000
	s_waitcnt vmcnt(0)
	v_max_f32_e32 v13, v5, v5
	v_max_f32_e32 v14, v6, v6
	;; [unrolled: 1-line block ×4, first 2 shown]
	v_sub_f32_e32 v13, v1, v10
	v_sub_f32_e32 v14, v2, v11
	v_mov_b32_e32 v1, v10
	v_sub_f32_e32 v5, v5, v10
	v_mov_b32_e32 v2, v11
	v_mul_f32_e32 v10, 0x3fb8aa3b, v13
	v_sub_f32_e32 v6, v6, v11
	v_mul_f32_e32 v11, 0x3fb8aa3b, v5
	v_fma_f32 v17, v13, s0, -v10
	v_rndne_f32_e32 v18, v10
	v_mul_f32_e32 v15, 0x3fb8aa3b, v14
	v_fma_f32 v19, v5, s0, -v11
	v_rndne_f32_e32 v20, v11
	v_fmac_f32_e32 v17, 0x32a5705f, v13
	v_sub_f32_e32 v10, v10, v18
	v_mul_f32_e32 v16, 0x3fb8aa3b, v6
	v_fma_f32 v21, v14, s0, -v15
	v_rndne_f32_e32 v22, v15
	v_fmac_f32_e32 v19, 0x32a5705f, v5
	v_sub_f32_e32 v11, v11, v20
	v_add_f32_e32 v10, v10, v17
	v_fma_f32 v23, v6, s0, -v16
	v_rndne_f32_e32 v24, v16
	v_cvt_i32_f32_e32 v18, v18
	v_fmac_f32_e32 v21, 0x32a5705f, v14
	v_sub_f32_e32 v15, v15, v22
	v_add_f32_e32 v11, v11, v19
	v_exp_f32_e32 v10, v10
	v_cvt_i32_f32_e32 v20, v20
	v_fmac_f32_e32 v23, 0x32a5705f, v6
	v_sub_f32_e32 v16, v16, v24
	v_add_f32_e32 v15, v15, v21
	v_exp_f32_e32 v11, v11
	v_cvt_i32_f32_e32 v22, v22
	v_add_f32_e32 v16, v16, v23
	v_exp_f32_e32 v15, v15
	v_cvt_i32_f32_e32 v24, v24
	v_exp_f32_e32 v16, v16
	v_ldexp_f32 v10, v10, v18
	v_cmp_ngt_f32_e32 vcc, s1, v13
	v_ldexp_f32 v11, v11, v20
	v_cndmask_b32_e32 v10, 0, v10, vcc
	v_cmp_ngt_f32_e32 vcc, s1, v5
	v_ldexp_f32 v15, v15, v22
	v_cndmask_b32_e32 v11, 0, v11, vcc
	;; [unrolled: 3-line block ×3, first 2 shown]
	v_cmp_ngt_f32_e32 vcc, s1, v6
	v_cndmask_b32_e32 v16, 0, v16, vcc
	v_cmp_nlt_f32_e32 vcc, s2, v13
	v_cndmask_b32_e32 v10, v12, v10, vcc
	v_cmp_nlt_f32_e32 vcc, s2, v5
	v_cndmask_b32_e32 v5, v12, v11, vcc
	v_cmp_nlt_f32_e32 vcc, s2, v14
	v_cndmask_b32_e32 v11, v12, v15, vcc
	v_cmp_nlt_f32_e32 vcc, s2, v6
	v_cndmask_b32_e32 v6, v12, v16, vcc
	v_fmac_f32_e32 v5, v3, v10
	v_cvt_f16_f32_e32 v10, v10
	v_cvt_f16_f32_e32 v12, v11
	v_fmac_f32_e32 v6, v4, v11
	v_mov_b32_e32 v3, v5
	v_mul_u32_u24_e32 v4, 0x10001, v10
	v_mul_u32_u24_e32 v10, 0x10001, v12
	v_pk_mul_f16 v34, v34, v4
	v_pk_mul_f16 v35, v35, v4
	;; [unrolled: 1-line block ×4, first 2 shown]
	v_mov_b32_e32 v4, v6
	v_cmp_gt_i32_e32 vcc, s26, v7
	s_and_saveexec_b64 s[0:1], vcc
	s_cbranch_execnz .LBB13_18
.LBB13_16:
	s_endpgm
.LBB13_17:
	v_mov_b32_e32 v6, v4
	v_mov_b32_e32 v5, v3
	v_cmp_gt_i32_e32 vcc, s26, v7
	s_and_saveexec_b64 s[0:1], vcc
	s_cbranch_execz .LBB13_16
.LBB13_18:
	s_load_dword s6, s[4:5], 0xd4
	v_mov_b32_e32 v10, 1.0
	s_waitcnt lgkmcnt(0)
	s_cmp_lg_u32 s6, 1
	s_cselect_b64 s[0:1], -1, 0
	s_cmp_eq_u32 s6, 1
	s_cselect_b64 s[2:3], -1, 0
	s_and_b64 vcc, exec, s[0:1]
	s_cbranch_vccnz .LBB13_20
; %bb.19:
	v_div_scale_f32 v10, s[4:5], v3, v3, 1.0
	v_div_scale_f32 v11, vcc, 1.0, v3, 1.0
	v_rcp_f32_e32 v12, v10
	v_fma_f32 v13, -v10, v12, 1.0
	v_fmac_f32_e32 v12, v13, v12
	v_mul_f32_e32 v13, v11, v12
	v_fma_f32 v14, -v10, v13, v11
	v_fmac_f32_e32 v13, v14, v12
	v_fma_f32 v10, -v10, v13, v11
	v_div_fmas_f32 v10, v10, v12, v13
	v_div_fixup_f32 v10, v10, v3, 1.0
.LBB13_20:
	s_mul_i32 s33, s33, s26
	v_add_u32_e32 v3, s33, v7
	v_mul_lo_u32 v3, v3, s27
	v_cmp_eq_u32_e32 vcc, 0, v0
	v_cvt_f32_f16_e32 v0, v34
	v_mov_b32_e32 v16, 0
	v_add3_u32 v3, s29, v8, v3
	v_mul_lo_u32 v3, s6, v3
	v_cvt_f32_f16_sdwa v8, v34 dst_sel:DWORD dst_unused:UNUSED_PAD src0_sel:WORD_1
	v_cvt_f32_f16_e32 v13, v35
	s_and_b64 s[0:1], vcc, s[0:1]
	v_add_u32_e32 v7, s7, v3
	v_lshl_add_u32 v15, v7, 7, v9
	v_cvt_f32_f16_sdwa v3, v35 dst_sel:DWORD dst_unused:UNUSED_PAD src0_sel:WORD_1
	v_lshlrev_b64 v[15:16], 2, v[15:16]
	v_mul_f32_e32 v11, v10, v0
	v_mov_b32_e32 v0, s21
	v_add_co_u32_e32 v15, vcc, s20, v15
	v_mul_f32_e32 v12, v10, v8
	v_mul_f32_e32 v13, v10, v13
	;; [unrolled: 1-line block ×3, first 2 shown]
	v_addc_co_u32_e32 v16, vcc, v0, v16, vcc
	global_store_dwordx4 v[15:16], v[11:14], off
	s_and_saveexec_b64 s[4:5], s[0:1]
	s_cbranch_execz .LBB13_22
; %bb.21:
	v_ashrrev_i32_e32 v8, 31, v7
	v_lshlrev_b64 v[10:11], 3, v[7:8]
	v_mov_b32_e32 v0, s23
	v_add_co_u32_e32 v10, vcc, s22, v10
	v_addc_co_u32_e32 v11, vcc, v0, v11, vcc
	v_mov_b32_e32 v0, v1
	v_mov_b32_e32 v1, v5
	global_store_dwordx2 v[10:11], v[0:1], off
.LBB13_22:
	s_or_b64 exec, exec, s[4:5]
	s_andn2_b64 vcc, exec, s[2:3]
	v_mov_b32_e32 v1, 1.0
	s_cbranch_vccnz .LBB13_24
; %bb.23:
	v_div_scale_f32 v0, s[2:3], v4, v4, 1.0
	v_div_scale_f32 v1, vcc, 1.0, v4, 1.0
	v_rcp_f32_e32 v3, v0
	v_fma_f32 v5, -v0, v3, 1.0
	v_fmac_f32_e32 v3, v5, v3
	v_mul_f32_e32 v5, v1, v3
	v_fma_f32 v8, -v0, v5, v1
	v_fmac_f32_e32 v5, v8, v3
	v_fma_f32 v0, -v0, v5, v1
	v_div_fmas_f32 v0, v0, v3, v5
	v_div_fixup_f32 v1, v0, v4, 1.0
.LBB13_24:
	v_add_u32_e32 v0, s6, v7
	v_lshl_add_u32 v3, v0, 7, v9
	v_cvt_f32_f16_e32 v5, v33
	v_cvt_f32_f16_sdwa v8, v33 dst_sel:DWORD dst_unused:UNUSED_PAD src0_sel:WORD_1
	v_cvt_f32_f16_e32 v9, v32
	v_cvt_f32_f16_sdwa v10, v32 dst_sel:DWORD dst_unused:UNUSED_PAD src0_sel:WORD_1
	v_mov_b32_e32 v4, 0
	v_lshlrev_b64 v[3:4], 2, v[3:4]
	v_mul_f32_e32 v7, v1, v5
	v_mul_f32_e32 v8, v1, v8
	;; [unrolled: 1-line block ×4, first 2 shown]
	v_mov_b32_e32 v1, s21
	v_add_co_u32_e32 v3, vcc, s20, v3
	v_addc_co_u32_e32 v4, vcc, v1, v4, vcc
	global_store_dwordx4 v[3:4], v[7:10], off
	s_and_b64 exec, exec, s[0:1]
	s_cbranch_execz .LBB13_16
; %bb.25:
	v_ashrrev_i32_e32 v1, 31, v0
	v_lshlrev_b64 v[0:1], 3, v[0:1]
	v_mov_b32_e32 v3, s23
	v_add_co_u32_e32 v0, vcc, s22, v0
	v_addc_co_u32_e32 v1, vcc, v3, v1, vcc
	v_mov_b32_e32 v5, v2
	global_store_dwordx2 v[0:1], v[5:6], off
	s_endpgm
	.section	.rodata,"a",@progbits
	.p2align	6, 0x0
	.amdhsa_kernel _ZL15flash_attn_tileILi192ELi128ELi2ELi8ELb0EEvPKcS1_S1_S1_S1_PKiPfP15HIP_vector_typeIfLj2EEffffjfiS5_IjLj3EEiiiiiiiiiiiliiliiiiil
		.amdhsa_group_segment_fixed_size 11776
		.amdhsa_private_segment_fixed_size 0
		.amdhsa_kernarg_size 464
		.amdhsa_user_sgpr_count 6
		.amdhsa_user_sgpr_private_segment_buffer 1
		.amdhsa_user_sgpr_dispatch_ptr 0
		.amdhsa_user_sgpr_queue_ptr 0
		.amdhsa_user_sgpr_kernarg_segment_ptr 1
		.amdhsa_user_sgpr_dispatch_id 0
		.amdhsa_user_sgpr_flat_scratch_init 0
		.amdhsa_user_sgpr_private_segment_size 0
		.amdhsa_uses_dynamic_stack 0
		.amdhsa_system_sgpr_private_segment_wavefront_offset 0
		.amdhsa_system_sgpr_workgroup_id_x 1
		.amdhsa_system_sgpr_workgroup_id_y 1
		.amdhsa_system_sgpr_workgroup_id_z 1
		.amdhsa_system_sgpr_workgroup_info 0
		.amdhsa_system_vgpr_workitem_id 1
		.amdhsa_next_free_vgpr 50
		.amdhsa_next_free_sgpr 98
		.amdhsa_reserve_vcc 1
		.amdhsa_reserve_flat_scratch 0
		.amdhsa_float_round_mode_32 0
		.amdhsa_float_round_mode_16_64 0
		.amdhsa_float_denorm_mode_32 3
		.amdhsa_float_denorm_mode_16_64 3
		.amdhsa_dx10_clamp 1
		.amdhsa_ieee_mode 1
		.amdhsa_fp16_overflow 0
		.amdhsa_exception_fp_ieee_invalid_op 0
		.amdhsa_exception_fp_denorm_src 0
		.amdhsa_exception_fp_ieee_div_zero 0
		.amdhsa_exception_fp_ieee_overflow 0
		.amdhsa_exception_fp_ieee_underflow 0
		.amdhsa_exception_fp_ieee_inexact 0
		.amdhsa_exception_int_div_zero 0
	.end_amdhsa_kernel
	.section	.text._ZL15flash_attn_tileILi192ELi128ELi2ELi8ELb0EEvPKcS1_S1_S1_S1_PKiPfP15HIP_vector_typeIfLj2EEffffjfiS5_IjLj3EEiiiiiiiiiiiliiliiiiil,"axG",@progbits,_ZL15flash_attn_tileILi192ELi128ELi2ELi8ELb0EEvPKcS1_S1_S1_S1_PKiPfP15HIP_vector_typeIfLj2EEffffjfiS5_IjLj3EEiiiiiiiiiiiliiliiiiil,comdat
.Lfunc_end13:
	.size	_ZL15flash_attn_tileILi192ELi128ELi2ELi8ELb0EEvPKcS1_S1_S1_S1_PKiPfP15HIP_vector_typeIfLj2EEffffjfiS5_IjLj3EEiiiiiiiiiiiliiliiiiil, .Lfunc_end13-_ZL15flash_attn_tileILi192ELi128ELi2ELi8ELb0EEvPKcS1_S1_S1_S1_PKiPfP15HIP_vector_typeIfLj2EEffffjfiS5_IjLj3EEiiiiiiiiiiiliiliiiiil
                                        ; -- End function
	.set _ZL15flash_attn_tileILi192ELi128ELi2ELi8ELb0EEvPKcS1_S1_S1_S1_PKiPfP15HIP_vector_typeIfLj2EEffffjfiS5_IjLj3EEiiiiiiiiiiiliiliiiiil.num_vgpr, 50
	.set _ZL15flash_attn_tileILi192ELi128ELi2ELi8ELb0EEvPKcS1_S1_S1_S1_PKiPfP15HIP_vector_typeIfLj2EEffffjfiS5_IjLj3EEiiiiiiiiiiiliiliiiiil.num_agpr, 0
	.set _ZL15flash_attn_tileILi192ELi128ELi2ELi8ELb0EEvPKcS1_S1_S1_S1_PKiPfP15HIP_vector_typeIfLj2EEffffjfiS5_IjLj3EEiiiiiiiiiiiliiliiiiil.numbered_sgpr, 44
	.set _ZL15flash_attn_tileILi192ELi128ELi2ELi8ELb0EEvPKcS1_S1_S1_S1_PKiPfP15HIP_vector_typeIfLj2EEffffjfiS5_IjLj3EEiiiiiiiiiiiliiliiiiil.num_named_barrier, 0
	.set _ZL15flash_attn_tileILi192ELi128ELi2ELi8ELb0EEvPKcS1_S1_S1_S1_PKiPfP15HIP_vector_typeIfLj2EEffffjfiS5_IjLj3EEiiiiiiiiiiiliiliiiiil.private_seg_size, 0
	.set _ZL15flash_attn_tileILi192ELi128ELi2ELi8ELb0EEvPKcS1_S1_S1_S1_PKiPfP15HIP_vector_typeIfLj2EEffffjfiS5_IjLj3EEiiiiiiiiiiiliiliiiiil.uses_vcc, 1
	.set _ZL15flash_attn_tileILi192ELi128ELi2ELi8ELb0EEvPKcS1_S1_S1_S1_PKiPfP15HIP_vector_typeIfLj2EEffffjfiS5_IjLj3EEiiiiiiiiiiiliiliiiiil.uses_flat_scratch, 0
	.set _ZL15flash_attn_tileILi192ELi128ELi2ELi8ELb0EEvPKcS1_S1_S1_S1_PKiPfP15HIP_vector_typeIfLj2EEffffjfiS5_IjLj3EEiiiiiiiiiiiliiliiiiil.has_dyn_sized_stack, 0
	.set _ZL15flash_attn_tileILi192ELi128ELi2ELi8ELb0EEvPKcS1_S1_S1_S1_PKiPfP15HIP_vector_typeIfLj2EEffffjfiS5_IjLj3EEiiiiiiiiiiiliiliiiiil.has_recursion, 0
	.set _ZL15flash_attn_tileILi192ELi128ELi2ELi8ELb0EEvPKcS1_S1_S1_S1_PKiPfP15HIP_vector_typeIfLj2EEffffjfiS5_IjLj3EEiiiiiiiiiiiliiliiiiil.has_indirect_call, 0
	.section	.AMDGPU.csdata,"",@progbits
; Kernel info:
; codeLenInByte = 8416
; TotalNumSgprs: 48
; NumVgprs: 50
; ScratchSize: 0
; MemoryBound: 0
; FloatMode: 240
; IeeeMode: 1
; LDSByteSize: 11776 bytes/workgroup (compile time only)
; SGPRBlocks: 12
; VGPRBlocks: 12
; NumSGPRsForWavesPerEU: 102
; NumVGPRsForWavesPerEU: 50
; Occupancy: 4
; WaveLimiterHint : 1
; COMPUTE_PGM_RSRC2:SCRATCH_EN: 0
; COMPUTE_PGM_RSRC2:USER_SGPR: 6
; COMPUTE_PGM_RSRC2:TRAP_HANDLER: 0
; COMPUTE_PGM_RSRC2:TGID_X_EN: 1
; COMPUTE_PGM_RSRC2:TGID_Y_EN: 1
; COMPUTE_PGM_RSRC2:TGID_Z_EN: 1
; COMPUTE_PGM_RSRC2:TIDIG_COMP_CNT: 1
	.section	.text._ZL33flash_attn_stream_k_fixup_uniformILi128ELi2ELi8EEvPfPK15HIP_vector_typeIfLj2EEiiiiiiS1_IjLj3EES5_S5_,"axG",@progbits,_ZL33flash_attn_stream_k_fixup_uniformILi128ELi2ELi8EEvPfPK15HIP_vector_typeIfLj2EEiiiiiiS1_IjLj3EES5_S5_,comdat
	.globl	_ZL33flash_attn_stream_k_fixup_uniformILi128ELi2ELi8EEvPfPK15HIP_vector_typeIfLj2EEiiiiiiS1_IjLj3EES5_S5_ ; -- Begin function _ZL33flash_attn_stream_k_fixup_uniformILi128ELi2ELi8EEvPfPK15HIP_vector_typeIfLj2EEiiiiiiS1_IjLj3EES5_S5_
	.p2align	8
	.type	_ZL33flash_attn_stream_k_fixup_uniformILi128ELi2ELi8EEvPfPK15HIP_vector_typeIfLj2EEiiiiiiS1_IjLj3EES5_S5_,@function
_ZL33flash_attn_stream_k_fixup_uniformILi128ELi2ELi8EEvPfPK15HIP_vector_typeIfLj2EEiiiiiiS1_IjLj3EES5_S5_: ; @_ZL33flash_attn_stream_k_fixup_uniformILi128ELi2ELi8EEvPfPK15HIP_vector_typeIfLj2EEiiiiiiS1_IjLj3EES5_S5_
; %bb.0:
	s_load_dwordx8 s[12:19], s[4:5], 0x1c
	s_load_dwordx2 s[10:11], s[4:5], 0x10
	s_load_dwordx4 s[0:3], s[4:5], 0x3c
	s_waitcnt lgkmcnt(0)
	s_mul_hi_u32 s9, s15, s6
	s_add_i32 s9, s6, s9
	s_lshr_b32 s9, s9, s16
	s_mul_i32 s15, s9, s17
	s_sub_i32 s15, s6, s15
	s_mul_hi_u32 s16, s15, s18
	s_add_i32 s16, s15, s16
	s_lshr_b32 s16, s16, s19
	s_mul_i32 s0, s16, s0
	s_sub_i32 s0, s15, s0
	;; [unrolled: 5-line block ×3, first 2 shown]
	s_lshl_b32 s0, s17, 1
	s_lshl_b32 s15, s1, 3
	s_add_i32 s0, s0, s7
	s_cmp_lt_i32 s0, s10
	s_cselect_b64 s[0:1], -1, 0
	s_add_i32 s2, s15, s8
	s_cmp_lt_i32 s2, s13
	s_cselect_b64 s[2:3], -1, 0
	s_and_b64 s[0:1], s[0:1], s[2:3]
	s_andn2_b64 vcc, exec, s[0:1]
	s_cbranch_vccnz .LBB14_6
; %bb.1:
	s_load_dwordx4 s[0:3], s[4:5], 0x0
	s_mul_i32 s4, s9, s10
	s_add_i32 s4, s4, s7
	s_mul_i32 s4, s4, s11
	s_mul_i32 s16, s16, s13
	s_add_i32 s4, s4, s8
	s_add_i32 s4, s4, s16
	s_mul_i32 s5, s11, s17
	s_add_i32 s4, s4, s15
	s_lshl_b32 s5, s5, 8
	s_lshl_b32 s4, s4, 7
	s_add_i32 s5, s5, s4
	v_or_b32_e32 v1, s5, v0
	v_ashrrev_i32_e32 v2, 31, v1
	v_lshlrev_b64 v[1:2], 2, v[1:2]
	s_waitcnt lgkmcnt(0)
	v_mov_b32_e32 v3, s1
	v_add_co_u32_e32 v1, vcc, s0, v1
	v_addc_co_u32_e32 v2, vcc, v3, v2, vcc
	global_load_dword v8, v[1:2], off
	s_mul_i32 s9, s14, s6
	s_lshl_b32 s4, s7, 3
	s_add_i32 s11, s9, s14
	s_add_i32 s0, s4, s8
	s_lshl_b32 s1, s11, 4
	s_add_i32 s0, s0, s1
	s_add_i32 s0, s0, -16
	s_ashr_i32 s1, s0, 31
	s_lshl_b64 s[0:1], s[0:1], 3
	s_add_u32 s0, s2, s0
	s_addc_u32 s1, s3, s1
	s_load_dword s5, s[0:1], 0x4
	s_add_i32 s10, s11, -2
	s_cmp_lt_i32 s10, s9
	s_cbranch_scc1 .LBB14_4
; %bb.2:
	s_lshl_b32 s16, s12, 6
	s_ashr_i32 s17, s16, 31
	s_lshl_b64 s[16:17], s[16:17], 2
	s_add_u32 s10, s2, s16
	s_addc_u32 s13, s3, s17
	s_add_i32 s6, s6, 1
	s_load_dword s0, s[0:1], 0x0
	s_mul_i32 s1, s14, s6
	s_lshl_b32 s7, s7, 10
	s_lshl_b32 s14, s8, 7
	;; [unrolled: 1-line block ×3, first 2 shown]
	s_add_i32 s7, s14, s7
	s_lshl_b32 s1, s1, 4
	s_add_i32 s7, s7, s6
	s_add_i32 s1, s8, s1
	s_lshl_b32 s6, s12, 4
	s_add_i32 s1, s1, s6
	v_or_b32_e32 v0, s7, v0
	s_add_i32 s1, s1, s4
	s_add_i32 s11, s11, -1
	v_add_u32_e32 v3, 0xfffff000, v0
	s_sub_i32 s4, s1, 32
	s_waitcnt lgkmcnt(0)
	v_mov_b32_e32 v7, s5
	v_mov_b32_e32 v6, s0
	;; [unrolled: 1-line block ×3, first 2 shown]
	s_mov_b32 s6, 0x3fb8aa3b
	s_mov_b32 s7, 0xc2ce8ed0
	;; [unrolled: 1-line block ×3, first 2 shown]
	v_mov_b32_e32 v5, 0x7f800000
	s_mov_b32 s12, 0xc1a00000
.LBB14_3:                               ; =>This Inner Loop Header: Depth=1
	v_ashrrev_i32_e32 v4, 31, v3
	v_lshlrev_b64 v[9:10], 2, v[3:4]
	s_ashr_i32 s5, s4, 31
	v_add_co_u32_e32 v9, vcc, s10, v9
	v_addc_co_u32_e32 v10, vcc, v0, v10, vcc
	global_load_dword v4, v[9:10], off
	s_lshl_b64 s[0:1], s[4:5], 3
	s_add_u32 s0, s2, s0
	s_addc_u32 s1, s3, s1
	s_load_dwordx2 s[14:15], s[0:1], 0x0
	s_waitcnt vmcnt(1)
	v_mov_b32_e32 v9, v8
	v_max_f32_e32 v8, v6, v6
	v_mov_b32_e32 v10, v7
	s_add_i32 s11, s11, -1
	s_waitcnt lgkmcnt(0)
	v_max_f32_e64 v7, s14, s14
	v_max_f32_e32 v7, v8, v7
	v_sub_f32_e32 v11, s14, v7
	v_sub_f32_e32 v8, v6, v7
	v_mul_f32_e32 v12, 0x3fb8aa3b, v11
	v_mov_b32_e32 v6, v7
	v_mul_f32_e32 v7, 0x3fb8aa3b, v8
	v_fma_f32 v15, v11, s6, -v12
	v_rndne_f32_e32 v16, v12
	v_fma_f32 v13, v8, s6, -v7
	v_rndne_f32_e32 v14, v7
	v_fmac_f32_e32 v15, 0x32a5705f, v11
	v_sub_f32_e32 v12, v12, v16
	v_fmac_f32_e32 v13, 0x32a5705f, v8
	v_sub_f32_e32 v7, v7, v14
	v_add_f32_e32 v12, v12, v15
	v_cvt_i32_f32_e32 v16, v16
	v_add_f32_e32 v7, v7, v13
	v_exp_f32_e32 v12, v12
	v_cvt_i32_f32_e32 v14, v14
	v_exp_f32_e32 v7, v7
	v_cmp_ngt_f32_e32 vcc, s7, v11
	v_ldexp_f32 v12, v12, v16
	v_cmp_ngt_f32_e64 s[0:1], s7, v8
	v_ldexp_f32 v7, v7, v14
	v_cndmask_b32_e32 v12, 0, v12, vcc
	v_cmp_nlt_f32_e32 vcc, s8, v11
	v_cndmask_b32_e64 v7, 0, v7, s[0:1]
	v_cmp_nlt_f32_e64 s[0:1], s8, v8
	v_cndmask_b32_e32 v12, v5, v12, vcc
	v_cmp_le_f32_e32 vcc, s12, v11
	v_cndmask_b32_e64 v7, v5, v7, s[0:1]
	v_cmp_le_f32_e64 s[0:1], s12, v8
	v_cndmask_b32_e32 v8, 0, v12, vcc
	s_add_i32 s4, s4, -16
	v_cndmask_b32_e64 v11, 0, v7, s[0:1]
	v_mul_f32_e32 v7, s15, v8
	v_add_u32_e32 v3, 0xfffff800, v3
	s_cmp_le_i32 s11, s9
	v_fmac_f32_e32 v7, v10, v11
	s_waitcnt vmcnt(0)
	v_mul_f32_e32 v8, v4, v8
	v_fmac_f32_e32 v8, v9, v11
	s_cbranch_scc0 .LBB14_3
	s_branch .LBB14_5
.LBB14_4:
	s_waitcnt lgkmcnt(0)
	v_mov_b32_e32 v7, s5
.LBB14_5:
	s_waitcnt vmcnt(0)
	v_div_scale_f32 v0, s[0:1], v7, v7, v8
	v_div_scale_f32 v3, vcc, v8, v7, v8
	v_rcp_f32_e32 v4, v0
	v_fma_f32 v5, -v0, v4, 1.0
	v_fmac_f32_e32 v4, v5, v4
	v_mul_f32_e32 v5, v3, v4
	v_fma_f32 v6, -v0, v5, v3
	v_fmac_f32_e32 v5, v6, v4
	v_fma_f32 v0, -v0, v5, v3
	v_div_fmas_f32 v0, v0, v4, v5
	v_div_fixup_f32 v0, v0, v7, v8
	global_store_dword v[1:2], v0, off
.LBB14_6:
	s_endpgm
	.section	.rodata,"a",@progbits
	.p2align	6, 0x0
	.amdhsa_kernel _ZL33flash_attn_stream_k_fixup_uniformILi128ELi2ELi8EEvPfPK15HIP_vector_typeIfLj2EEiiiiiiS1_IjLj3EES5_S5_
		.amdhsa_group_segment_fixed_size 0
		.amdhsa_private_segment_fixed_size 0
		.amdhsa_kernarg_size 76
		.amdhsa_user_sgpr_count 6
		.amdhsa_user_sgpr_private_segment_buffer 1
		.amdhsa_user_sgpr_dispatch_ptr 0
		.amdhsa_user_sgpr_queue_ptr 0
		.amdhsa_user_sgpr_kernarg_segment_ptr 1
		.amdhsa_user_sgpr_dispatch_id 0
		.amdhsa_user_sgpr_flat_scratch_init 0
		.amdhsa_user_sgpr_private_segment_size 0
		.amdhsa_uses_dynamic_stack 0
		.amdhsa_system_sgpr_private_segment_wavefront_offset 0
		.amdhsa_system_sgpr_workgroup_id_x 1
		.amdhsa_system_sgpr_workgroup_id_y 1
		.amdhsa_system_sgpr_workgroup_id_z 1
		.amdhsa_system_sgpr_workgroup_info 0
		.amdhsa_system_vgpr_workitem_id 0
		.amdhsa_next_free_vgpr 17
		.amdhsa_next_free_sgpr 20
		.amdhsa_reserve_vcc 1
		.amdhsa_reserve_flat_scratch 0
		.amdhsa_float_round_mode_32 0
		.amdhsa_float_round_mode_16_64 0
		.amdhsa_float_denorm_mode_32 3
		.amdhsa_float_denorm_mode_16_64 3
		.amdhsa_dx10_clamp 1
		.amdhsa_ieee_mode 1
		.amdhsa_fp16_overflow 0
		.amdhsa_exception_fp_ieee_invalid_op 0
		.amdhsa_exception_fp_denorm_src 0
		.amdhsa_exception_fp_ieee_div_zero 0
		.amdhsa_exception_fp_ieee_overflow 0
		.amdhsa_exception_fp_ieee_underflow 0
		.amdhsa_exception_fp_ieee_inexact 0
		.amdhsa_exception_int_div_zero 0
	.end_amdhsa_kernel
	.section	.text._ZL33flash_attn_stream_k_fixup_uniformILi128ELi2ELi8EEvPfPK15HIP_vector_typeIfLj2EEiiiiiiS1_IjLj3EES5_S5_,"axG",@progbits,_ZL33flash_attn_stream_k_fixup_uniformILi128ELi2ELi8EEvPfPK15HIP_vector_typeIfLj2EEiiiiiiS1_IjLj3EES5_S5_,comdat
.Lfunc_end14:
	.size	_ZL33flash_attn_stream_k_fixup_uniformILi128ELi2ELi8EEvPfPK15HIP_vector_typeIfLj2EEiiiiiiS1_IjLj3EES5_S5_, .Lfunc_end14-_ZL33flash_attn_stream_k_fixup_uniformILi128ELi2ELi8EEvPfPK15HIP_vector_typeIfLj2EEiiiiiiS1_IjLj3EES5_S5_
                                        ; -- End function
	.set _ZL33flash_attn_stream_k_fixup_uniformILi128ELi2ELi8EEvPfPK15HIP_vector_typeIfLj2EEiiiiiiS1_IjLj3EES5_S5_.num_vgpr, 17
	.set _ZL33flash_attn_stream_k_fixup_uniformILi128ELi2ELi8EEvPfPK15HIP_vector_typeIfLj2EEiiiiiiS1_IjLj3EES5_S5_.num_agpr, 0
	.set _ZL33flash_attn_stream_k_fixup_uniformILi128ELi2ELi8EEvPfPK15HIP_vector_typeIfLj2EEiiiiiiS1_IjLj3EES5_S5_.numbered_sgpr, 20
	.set _ZL33flash_attn_stream_k_fixup_uniformILi128ELi2ELi8EEvPfPK15HIP_vector_typeIfLj2EEiiiiiiS1_IjLj3EES5_S5_.num_named_barrier, 0
	.set _ZL33flash_attn_stream_k_fixup_uniformILi128ELi2ELi8EEvPfPK15HIP_vector_typeIfLj2EEiiiiiiS1_IjLj3EES5_S5_.private_seg_size, 0
	.set _ZL33flash_attn_stream_k_fixup_uniformILi128ELi2ELi8EEvPfPK15HIP_vector_typeIfLj2EEiiiiiiS1_IjLj3EES5_S5_.uses_vcc, 1
	.set _ZL33flash_attn_stream_k_fixup_uniformILi128ELi2ELi8EEvPfPK15HIP_vector_typeIfLj2EEiiiiiiS1_IjLj3EES5_S5_.uses_flat_scratch, 0
	.set _ZL33flash_attn_stream_k_fixup_uniformILi128ELi2ELi8EEvPfPK15HIP_vector_typeIfLj2EEiiiiiiS1_IjLj3EES5_S5_.has_dyn_sized_stack, 0
	.set _ZL33flash_attn_stream_k_fixup_uniformILi128ELi2ELi8EEvPfPK15HIP_vector_typeIfLj2EEiiiiiiS1_IjLj3EES5_S5_.has_recursion, 0
	.set _ZL33flash_attn_stream_k_fixup_uniformILi128ELi2ELi8EEvPfPK15HIP_vector_typeIfLj2EEiiiiiiS1_IjLj3EES5_S5_.has_indirect_call, 0
	.section	.AMDGPU.csdata,"",@progbits
; Kernel info:
; codeLenInByte = 856
; TotalNumSgprs: 24
; NumVgprs: 17
; ScratchSize: 0
; MemoryBound: 0
; FloatMode: 240
; IeeeMode: 1
; LDSByteSize: 0 bytes/workgroup (compile time only)
; SGPRBlocks: 2
; VGPRBlocks: 4
; NumSGPRsForWavesPerEU: 24
; NumVGPRsForWavesPerEU: 17
; Occupancy: 10
; WaveLimiterHint : 0
; COMPUTE_PGM_RSRC2:SCRATCH_EN: 0
; COMPUTE_PGM_RSRC2:USER_SGPR: 6
; COMPUTE_PGM_RSRC2:TRAP_HANDLER: 0
; COMPUTE_PGM_RSRC2:TGID_X_EN: 1
; COMPUTE_PGM_RSRC2:TGID_Y_EN: 1
; COMPUTE_PGM_RSRC2:TGID_Z_EN: 1
; COMPUTE_PGM_RSRC2:TIDIG_COMP_CNT: 0
	.section	.text._ZL33flash_attn_stream_k_fixup_generalILi128ELi2ELi8EEvPfPK15HIP_vector_typeIfLj2EEiiiiS1_IjLj3EES5_S5_S5_,"axG",@progbits,_ZL33flash_attn_stream_k_fixup_generalILi128ELi2ELi8EEvPfPK15HIP_vector_typeIfLj2EEiiiiS1_IjLj3EES5_S5_S5_,comdat
	.globl	_ZL33flash_attn_stream_k_fixup_generalILi128ELi2ELi8EEvPfPK15HIP_vector_typeIfLj2EEiiiiS1_IjLj3EES5_S5_S5_ ; -- Begin function _ZL33flash_attn_stream_k_fixup_generalILi128ELi2ELi8EEvPfPK15HIP_vector_typeIfLj2EEiiiiS1_IjLj3EES5_S5_S5_
	.p2align	8
	.type	_ZL33flash_attn_stream_k_fixup_generalILi128ELi2ELi8EEvPfPK15HIP_vector_typeIfLj2EEiiiiS1_IjLj3EES5_S5_S5_,@function
_ZL33flash_attn_stream_k_fixup_generalILi128ELi2ELi8EEvPfPK15HIP_vector_typeIfLj2EEiiiiS1_IjLj3EES5_S5_S5_: ; @_ZL33flash_attn_stream_k_fixup_generalILi128ELi2ELi8EEvPfPK15HIP_vector_typeIfLj2EEiiiiS1_IjLj3EES5_S5_S5_
; %bb.0:
	s_load_dwordx4 s[0:3], s[4:5], 0x10
	s_load_dword s22, s[4:5], 0x50
	s_mov_b32 s12, 0
	s_waitcnt lgkmcnt(0)
	s_mul_hi_i32 s13, s3, s6
	s_cmp_lg_u64 s[12:13], 0
	s_mul_i32 s9, s3, s6
	s_cbranch_scc0 .LBB15_20
; %bb.1:
	s_add_u32 s10, s22, 0
	s_addc_u32 s11, 0, 0
	s_xor_b64 s[10:11], s[10:11], 0
	v_cvt_f32_u32_e32 v1, s10
	v_cvt_f32_u32_e32 v2, s11
	s_sub_u32 s12, 0, s10
	s_subb_u32 s18, 0, s11
	v_madmk_f32 v1, v2, 0x4f800000, v1
	v_rcp_f32_e32 v1, v1
	v_mul_f32_e32 v1, 0x5f7ffffc, v1
	v_mul_f32_e32 v2, 0x2f800000, v1
	v_trunc_f32_e32 v2, v2
	v_madmk_f32 v1, v2, 0xcf800000, v1
	v_cvt_u32_f32_e32 v2, v2
	v_cvt_u32_f32_e32 v1, v1
	v_readfirstlane_b32 s19, v2
	v_readfirstlane_b32 s14, v1
	s_mul_i32 s15, s12, s19
	s_mul_hi_u32 s21, s12, s14
	s_mul_i32 s20, s18, s14
	s_add_i32 s15, s21, s15
	s_add_i32 s15, s15, s20
	s_mul_i32 s23, s12, s14
	s_mul_i32 s21, s14, s15
	s_mul_hi_u32 s24, s14, s23
	s_mul_hi_u32 s20, s14, s15
	s_add_u32 s21, s24, s21
	s_addc_u32 s20, 0, s20
	s_mul_hi_u32 s25, s19, s23
	s_mul_i32 s23, s19, s23
	s_add_u32 s21, s21, s23
	s_mul_hi_u32 s24, s19, s15
	s_addc_u32 s20, s20, s25
	s_addc_u32 s21, s24, 0
	s_mul_i32 s15, s19, s15
	s_add_u32 s15, s20, s15
	s_addc_u32 s20, 0, s21
	s_add_u32 s21, s14, s15
	s_cselect_b64 s[14:15], -1, 0
	s_cmp_lg_u64 s[14:15], 0
	s_addc_u32 s19, s19, s20
	s_mul_i32 s14, s12, s19
	s_mul_hi_u32 s15, s12, s21
	s_add_i32 s14, s15, s14
	s_mul_i32 s18, s18, s21
	s_add_i32 s14, s14, s18
	s_mul_i32 s12, s12, s21
	s_mul_hi_u32 s18, s19, s12
	s_mul_i32 s20, s19, s12
	s_mul_i32 s24, s21, s14
	s_mul_hi_u32 s12, s21, s12
	s_mul_hi_u32 s23, s21, s14
	s_add_u32 s12, s12, s24
	s_addc_u32 s23, 0, s23
	s_add_u32 s12, s12, s20
	s_mul_hi_u32 s15, s19, s14
	s_addc_u32 s12, s23, s18
	s_addc_u32 s15, s15, 0
	s_mul_i32 s14, s19, s14
	s_add_u32 s12, s12, s14
	s_addc_u32 s18, 0, s15
	s_add_u32 s20, s21, s12
	s_cselect_b64 s[14:15], -1, 0
	s_cmp_lg_u64 s[14:15], 0
	s_addc_u32 s18, s19, s18
	s_ashr_i32 s14, s13, 31
	s_add_u32 s12, s9, s14
	s_mov_b32 s15, s14
	s_addc_u32 s13, s13, s14
	s_xor_b64 s[12:13], s[12:13], s[14:15]
	s_mul_i32 s21, s12, s18
	s_mul_hi_u32 s23, s12, s20
	s_mul_hi_u32 s19, s12, s18
	s_add_u32 s21, s23, s21
	s_addc_u32 s19, 0, s19
	s_mul_hi_u32 s24, s13, s20
	s_mul_i32 s20, s13, s20
	s_add_u32 s20, s21, s20
	s_mul_hi_u32 s23, s13, s18
	s_addc_u32 s19, s19, s24
	s_addc_u32 s20, s23, 0
	s_mul_i32 s18, s13, s18
	s_add_u32 s23, s19, s18
	s_addc_u32 s24, 0, s20
	s_mul_i32 s18, s10, s24
	s_mul_hi_u32 s19, s10, s23
	s_add_i32 s18, s19, s18
	s_mul_i32 s19, s11, s23
	s_add_i32 s25, s18, s19
	s_sub_i32 s20, s13, s25
	s_mul_i32 s18, s10, s23
	s_sub_u32 s12, s12, s18
	s_cselect_b64 s[18:19], -1, 0
	s_cmp_lg_u64 s[18:19], 0
	s_subb_u32 s26, s20, s11
	s_sub_u32 s27, s12, s10
	s_cselect_b64 s[20:21], -1, 0
	s_cmp_lg_u64 s[20:21], 0
	s_subb_u32 s20, s26, 0
	s_cmp_ge_u32 s20, s11
	s_cselect_b32 s21, -1, 0
	s_cmp_ge_u32 s27, s10
	s_cselect_b32 s26, -1, 0
	s_cmp_eq_u32 s20, s11
	s_cselect_b32 s20, s26, s21
	s_add_u32 s21, s23, 1
	s_addc_u32 s26, s24, 0
	s_add_u32 s27, s23, 2
	s_addc_u32 s28, s24, 0
	s_cmp_lg_u32 s20, 0
	s_cselect_b32 s20, s27, s21
	s_cselect_b32 s21, s28, s26
	s_cmp_lg_u64 s[18:19], 0
	s_subb_u32 s13, s13, s25
	s_cmp_ge_u32 s13, s11
	s_cselect_b32 s18, -1, 0
	s_cmp_ge_u32 s12, s10
	s_cselect_b32 s10, -1, 0
	s_cmp_eq_u32 s13, s11
	s_cselect_b32 s10, s10, s18
	s_cmp_lg_u32 s10, 0
	s_cselect_b32 s11, s21, s24
	s_cselect_b32 s10, s20, s23
	s_xor_b64 s[12:13], s[14:15], 0
	s_xor_b64 s[10:11], s[10:11], s[12:13]
	s_sub_u32 s10, s10, s12
	s_load_dwordx4 s[12:15], s[4:5], 0x44
	s_cbranch_execnz .LBB15_3
.LBB15_2:
	v_cvt_f32_u32_e32 v1, s22
	s_sub_i32 s10, 0, s22
	v_rcp_iflag_f32_e32 v1, v1
	v_mul_f32_e32 v1, 0x4f7ffffe, v1
	v_cvt_u32_f32_e32 v1, v1
	v_readfirstlane_b32 s11, v1
	s_mul_i32 s10, s10, s11
	s_mul_hi_u32 s10, s11, s10
	s_add_i32 s11, s11, s10
	s_mul_hi_u32 s10, s9, s11
	s_waitcnt lgkmcnt(0)
	s_mul_i32 s15, s10, s22
	s_sub_i32 s9, s9, s15
	s_add_i32 s11, s10, 1
	s_sub_i32 s15, s9, s22
	s_cmp_ge_u32 s9, s22
	s_cselect_b32 s10, s11, s10
	s_cselect_b32 s9, s15, s9
	s_add_i32 s11, s10, 1
	s_cmp_ge_u32 s9, s22
	s_cselect_b32 s10, s11, s10
.LBB15_3:
	s_add_i32 s9, s6, 1
	s_mul_hi_i32 s21, s3, s9
	s_mov_b32 s20, 0
	s_cmp_lg_u64 s[20:21], 0
	s_mul_i32 s9, s3, s9
	s_cbranch_scc0 .LBB15_21
; %bb.4:
	s_add_u32 s16, s22, 0
	s_addc_u32 s17, 0, 0
	s_xor_b64 s[18:19], s[16:17], 0
	v_cvt_f32_u32_e32 v1, s18
	v_cvt_f32_u32_e32 v2, s19
	s_sub_u32 s11, 0, s18
	s_waitcnt lgkmcnt(0)
	s_subb_u32 s15, 0, s19
	v_madmk_f32 v1, v2, 0x4f800000, v1
	v_rcp_f32_e32 v1, v1
	v_mul_f32_e32 v1, 0x5f7ffffc, v1
	v_mul_f32_e32 v2, 0x2f800000, v1
	v_trunc_f32_e32 v2, v2
	v_madmk_f32 v1, v2, 0xcf800000, v1
	v_cvt_u32_f32_e32 v2, v2
	v_cvt_u32_f32_e32 v1, v1
	v_readfirstlane_b32 s20, v2
	v_readfirstlane_b32 s23, v1
	s_mul_i32 s24, s11, s20
	s_mul_hi_u32 s26, s11, s23
	s_mul_i32 s25, s15, s23
	s_add_i32 s24, s26, s24
	s_add_i32 s24, s24, s25
	s_mul_i32 s27, s11, s23
	s_mul_i32 s26, s23, s24
	s_mul_hi_u32 s28, s23, s27
	s_mul_hi_u32 s25, s23, s24
	s_add_u32 s26, s28, s26
	s_addc_u32 s25, 0, s25
	s_mul_hi_u32 s29, s20, s27
	s_mul_i32 s27, s20, s27
	s_add_u32 s26, s26, s27
	s_mul_hi_u32 s28, s20, s24
	s_addc_u32 s25, s25, s29
	s_addc_u32 s26, s28, 0
	s_mul_i32 s24, s20, s24
	s_add_u32 s24, s25, s24
	s_addc_u32 s26, 0, s26
	s_add_u32 s23, s23, s24
	s_cselect_b64 s[24:25], -1, 0
	s_cmp_lg_u64 s[24:25], 0
	s_addc_u32 s20, s20, s26
	s_mul_i32 s24, s11, s20
	s_mul_hi_u32 s25, s11, s23
	s_add_i32 s24, s25, s24
	s_mul_i32 s15, s15, s23
	s_add_i32 s24, s24, s15
	s_mul_i32 s11, s11, s23
	s_mul_hi_u32 s25, s20, s11
	s_mul_i32 s26, s20, s11
	s_mul_i32 s28, s23, s24
	s_mul_hi_u32 s11, s23, s11
	s_mul_hi_u32 s27, s23, s24
	s_add_u32 s11, s11, s28
	s_addc_u32 s27, 0, s27
	s_add_u32 s11, s11, s26
	s_mul_hi_u32 s15, s20, s24
	s_addc_u32 s11, s27, s25
	s_addc_u32 s15, s15, 0
	s_mul_i32 s24, s20, s24
	s_add_u32 s11, s11, s24
	s_addc_u32 s15, 0, s15
	s_add_u32 s11, s23, s11
	s_cselect_b64 s[24:25], -1, 0
	s_cmp_lg_u64 s[24:25], 0
	s_addc_u32 s15, s20, s15
	s_ashr_i32 s24, s21, 31
	s_add_u32 s20, s9, s24
	s_mov_b32 s25, s24
	s_addc_u32 s21, s21, s24
	s_xor_b64 s[20:21], s[20:21], s[24:25]
	s_mul_i32 s26, s20, s15
	s_mul_hi_u32 s27, s20, s11
	s_mul_hi_u32 s23, s20, s15
	s_add_u32 s26, s27, s26
	s_addc_u32 s23, 0, s23
	s_mul_hi_u32 s28, s21, s11
	s_mul_i32 s11, s21, s11
	s_add_u32 s11, s26, s11
	s_mul_hi_u32 s27, s21, s15
	s_addc_u32 s11, s23, s28
	s_addc_u32 s23, s27, 0
	s_mul_i32 s15, s21, s15
	s_add_u32 s11, s11, s15
	s_addc_u32 s15, 0, s23
	s_mul_i32 s23, s18, s15
	s_mul_hi_u32 s26, s18, s11
	s_add_i32 s23, s26, s23
	s_mul_i32 s26, s19, s11
	s_add_i32 s23, s23, s26
	s_sub_i32 s28, s21, s23
	s_mul_i32 s26, s18, s11
	s_sub_u32 s20, s20, s26
	s_cselect_b64 s[26:27], -1, 0
	s_cmp_lg_u64 s[26:27], 0
	s_subb_u32 s30, s28, s19
	s_sub_u32 s31, s20, s18
	s_cselect_b64 s[28:29], -1, 0
	s_cmp_lg_u64 s[28:29], 0
	s_subb_u32 s28, s30, 0
	s_cmp_ge_u32 s28, s19
	s_cselect_b32 s29, -1, 0
	s_cmp_ge_u32 s31, s18
	s_cselect_b32 s30, -1, 0
	s_cmp_eq_u32 s28, s19
	s_cselect_b32 s28, s30, s29
	s_add_u32 s29, s11, 1
	s_addc_u32 s30, s15, 0
	s_add_u32 s31, s11, 2
	s_addc_u32 s33, s15, 0
	s_cmp_lg_u32 s28, 0
	s_cselect_b32 s28, s31, s29
	s_cselect_b32 s29, s33, s30
	s_cmp_lg_u64 s[26:27], 0
	s_subb_u32 s21, s21, s23
	s_cmp_ge_u32 s21, s19
	s_cselect_b32 s23, -1, 0
	s_cmp_ge_u32 s20, s18
	s_cselect_b32 s18, -1, 0
	s_cmp_eq_u32 s21, s19
	s_cselect_b32 s18, s18, s23
	s_cmp_lg_u32 s18, 0
	s_cselect_b32 s19, s29, s15
	s_cselect_b32 s18, s28, s11
	s_xor_b64 s[20:21], s[24:25], 0
	s_xor_b64 s[18:19], s[18:19], s[20:21]
	s_sub_u32 s18, s18, s20
	s_cbranch_execnz .LBB15_6
.LBB15_5:
	v_cvt_f32_u32_e32 v1, s22
	s_sub_i32 s11, 0, s22
	v_rcp_iflag_f32_e32 v1, v1
	v_mul_f32_e32 v1, 0x4f7ffffe, v1
	v_cvt_u32_f32_e32 v1, v1
	s_waitcnt lgkmcnt(0)
	v_readfirstlane_b32 s15, v1
	s_mul_i32 s11, s11, s15
	s_mul_hi_u32 s11, s15, s11
	s_add_i32 s15, s15, s11
	s_mul_hi_u32 s11, s9, s15
	s_mul_i32 s16, s11, s22
	s_sub_i32 s9, s9, s16
	s_add_i32 s15, s11, 1
	s_sub_i32 s16, s9, s22
	s_cmp_ge_u32 s9, s22
	s_cselect_b32 s11, s15, s11
	s_cselect_b32 s9, s16, s9
	s_add_i32 s15, s11, 1
	s_cmp_ge_u32 s9, s22
	s_cselect_b32 s18, s15, s11
.LBB15_6:
	s_cmp_eq_u32 s10, s18
	s_waitcnt lgkmcnt(0)
	s_mul_hi_u32 s9, s10, s12
	s_cselect_b64 s[16:17], -1, 0
	s_add_i32 s9, s9, s10
	s_lshr_b32 s11, s9, s13
	s_mul_i32 s9, s11, s14
	s_cmp_eq_u32 s9, s10
	s_mul_hi_u32 s9, s18, s12
	s_cselect_b64 s[20:21], -1, 0
	s_add_i32 s9, s9, s18
	s_lshr_b32 s9, s9, s13
	s_cmp_eq_u32 s11, s9
	s_mul_i32 s9, s9, s14
	s_cselect_b64 s[24:25], -1, 0
	s_cmp_lg_u32 s9, s18
	s_cselect_b64 s[18:19], -1, 0
	s_and_b64 s[18:19], s[24:25], s[18:19]
	s_or_b64 s[16:17], s[16:17], s[20:21]
	s_or_b64 s[16:17], s[16:17], s[18:19]
	s_and_b64 vcc, exec, s[16:17]
	s_cbranch_vccnz .LBB15_23
; %bb.7:
	s_load_dwordx8 s[24:31], s[4:5], 0x20
	s_load_dword s15, s[4:5], 0x40
	s_waitcnt lgkmcnt(0)
	s_mul_hi_u32 s9, s10, s24
	s_add_i32 s9, s9, s10
	s_lshr_b32 s9, s9, s25
	s_mul_i32 s16, s9, s26
	s_sub_i32 s16, s10, s16
	s_mul_hi_u32 s17, s16, s27
	s_add_i32 s17, s16, s17
	s_lshr_b32 s23, s17, s28
	s_mul_i32 s17, s23, s29
	s_sub_i32 s16, s16, s17
	;; [unrolled: 5-line block ×3, first 2 shown]
	s_mul_hi_u32 s16, s15, s12
	s_add_i32 s15, s15, s16
	s_lshr_b32 s25, s15, s13
	s_lshl_b32 s15, s25, 1
	s_lshl_b32 s24, s17, 3
	s_add_i32 s15, s15, s7
	s_cmp_lt_i32 s15, s0
	s_cselect_b64 s[16:17], -1, 0
	s_add_i32 s15, s24, s8
	s_cmp_lt_i32 s15, s2
	s_cselect_b64 s[18:19], -1, 0
	s_and_b64 s[16:17], s[16:17], s[18:19]
	s_andn2_b64 vcc, exec, s[16:17]
	s_cbranch_vccnz .LBB15_23
; %bb.8:
	s_load_dwordx4 s[16:19], s[4:5], 0x0
	s_mov_b32 s4, 0
	s_lshl_b32 s15, s7, 3
	s_lshl_b32 s20, s22, 6
	s_mov_b32 s21, s4
	s_add_i32 s15, s15, s8
	s_lshl_b64 s[20:21], s[20:21], 2
	s_waitcnt lgkmcnt(0)
	s_add_u32 s20, s18, s20
	s_mul_i32 s0, s9, s0
	s_addc_u32 s21, s19, s21
	s_add_i32 s0, s0, s7
	s_mul_i32 s0, s0, s1
	s_mul_i32 s23, s23, s2
	s_add_i32 s0, s0, s8
	s_add_i32 s0, s0, s23
	s_mul_i32 s2, s1, s25
	s_add_i32 s0, s0, s24
	s_lshl_b32 s2, s2, 8
	s_lshl_b32 s0, s0, 7
	s_add_i32 s2, s2, s0
	v_or_b32_e32 v1, s2, v0
	v_ashrrev_i32_e32 v2, 31, v1
	v_lshlrev_b64 v[1:2], 2, v[1:2]
	v_mov_b32_e32 v3, s17
	v_add_co_u32_e32 v1, vcc, s16, v1
	v_addc_co_u32_e32 v2, vcc, v3, v2, vcc
	global_load_dword v3, v[1:2], off
	v_cvt_f32_u32_e32 v4, s22
	s_lshl_b32 s0, s6, 4
	s_add_i32 s0, s15, s0
	s_ashr_i32 s1, s0, 31
	s_lshl_b64 s[0:1], s[0:1], 3
	v_rcp_iflag_f32_e32 v4, v4
	s_add_u32 s0, s18, s0
	s_addc_u32 s1, s19, s1
	s_load_dwordx2 s[0:1], s[0:1], 0x0
	v_mul_f32_e32 v4, 0x4f7ffffe, v4
	v_cvt_u32_f32_e32 v4, v4
	s_add_i32 s24, s6, -1
	v_lshl_or_b32 v0, s15, 7, v0
	s_waitcnt lgkmcnt(0)
	v_mov_b32_e32 v6, s1
	v_mov_b32_e32 v7, s0
	s_mov_b32 s2, 0x3fb8aa3b
	s_mov_b32 s16, 0xc2ce8ed0
	;; [unrolled: 1-line block ×4, first 2 shown]
	v_mov_b32_e32 v5, 0x7f800000
	s_mul_hi_i32 s5, s24, s3
	s_cmp_lg_u64 s[4:5], 0
	s_mul_i32 s8, s24, s3
	s_cbranch_scc0 .LBB15_19
.LBB15_9:
	s_add_u32 s0, s22, 0
	s_addc_u32 s1, 0, 0
	s_xor_b64 s[0:1], s[0:1], 0
	v_cvt_f32_u32_e32 v8, s0
	v_cvt_f32_u32_e32 v9, s1
	s_sub_u32 s9, 0, s0
	s_subb_u32 s25, 0, s1
	v_mac_f32_e32 v8, 0x4f800000, v9
	v_rcp_f32_e32 v8, v8
	v_mul_f32_e32 v8, 0x5f7ffffc, v8
	v_mul_f32_e32 v9, 0x2f800000, v8
	v_trunc_f32_e32 v9, v9
	v_mac_f32_e32 v8, 0xcf800000, v9
	v_cvt_u32_f32_e32 v9, v9
	v_cvt_u32_f32_e32 v8, v8
	v_readfirstlane_b32 s26, v9
	v_readfirstlane_b32 s6, v8
	s_mul_i32 s7, s9, s26
	s_mul_hi_u32 s28, s9, s6
	s_mul_i32 s27, s25, s6
	s_add_i32 s7, s28, s7
	s_mul_i32 s29, s9, s6
	s_add_i32 s7, s7, s27
	s_mul_i32 s28, s6, s7
	s_mul_hi_u32 s30, s6, s29
	s_mul_hi_u32 s27, s6, s7
	s_add_u32 s28, s30, s28
	s_addc_u32 s27, 0, s27
	s_mul_hi_u32 s31, s26, s29
	s_mul_i32 s29, s26, s29
	s_add_u32 s28, s28, s29
	s_mul_hi_u32 s30, s26, s7
	s_addc_u32 s27, s27, s31
	s_addc_u32 s28, s30, 0
	s_mul_i32 s7, s26, s7
	s_add_u32 s7, s27, s7
	s_addc_u32 s27, 0, s28
	s_add_u32 s28, s6, s7
	s_cselect_b64 s[6:7], -1, 0
	s_cmp_lg_u64 s[6:7], 0
	s_addc_u32 s26, s26, s27
	s_mul_i32 s6, s9, s26
	s_mul_hi_u32 s7, s9, s28
	s_add_i32 s6, s7, s6
	s_mul_i32 s25, s25, s28
	s_add_i32 s6, s6, s25
	s_mul_i32 s9, s9, s28
	s_mul_hi_u32 s25, s26, s9
	s_mul_i32 s27, s26, s9
	s_mul_i32 s30, s28, s6
	s_mul_hi_u32 s9, s28, s9
	s_mul_hi_u32 s29, s28, s6
	s_add_u32 s9, s9, s30
	s_addc_u32 s29, 0, s29
	s_add_u32 s9, s9, s27
	s_mul_hi_u32 s7, s26, s6
	s_addc_u32 s9, s29, s25
	s_addc_u32 s7, s7, 0
	s_mul_i32 s6, s26, s6
	s_add_u32 s6, s9, s6
	s_addc_u32 s9, 0, s7
	s_add_u32 s25, s28, s6
	s_cselect_b64 s[6:7], -1, 0
	s_cmp_lg_u64 s[6:7], 0
	s_addc_u32 s9, s26, s9
	s_ashr_i32 s6, s5, 31
	s_add_u32 s26, s8, s6
	s_mov_b32 s7, s6
	s_addc_u32 s27, s5, s6
	s_xor_b64 s[26:27], s[26:27], s[6:7]
	s_mul_i32 s28, s26, s9
	s_mul_hi_u32 s29, s26, s25
	s_mul_hi_u32 s5, s26, s9
	s_add_u32 s28, s29, s28
	s_addc_u32 s5, 0, s5
	s_mul_hi_u32 s30, s27, s25
	s_mul_i32 s25, s27, s25
	s_add_u32 s25, s28, s25
	s_mul_hi_u32 s29, s27, s9
	s_addc_u32 s5, s5, s30
	s_addc_u32 s25, s29, 0
	s_mul_i32 s9, s27, s9
	s_add_u32 s5, s5, s9
	s_addc_u32 s9, 0, s25
	s_mul_i32 s25, s0, s9
	s_mul_hi_u32 s28, s0, s5
	s_add_i32 s25, s28, s25
	s_mul_i32 s28, s1, s5
	s_add_i32 s25, s25, s28
	s_sub_i32 s30, s27, s25
	s_mul_i32 s28, s0, s5
	s_sub_u32 s26, s26, s28
	s_cselect_b64 s[28:29], -1, 0
	s_cmp_lg_u64 s[28:29], 0
	s_subb_u32 s33, s30, s1
	s_sub_u32 s34, s26, s0
	s_cselect_b64 s[30:31], -1, 0
	s_cmp_lg_u64 s[30:31], 0
	s_subb_u32 s30, s33, 0
	s_cmp_ge_u32 s30, s1
	s_cselect_b32 s31, -1, 0
	s_cmp_ge_u32 s34, s0
	s_cselect_b32 s33, -1, 0
	s_cmp_eq_u32 s30, s1
	s_cselect_b32 s30, s33, s31
	s_add_u32 s31, s5, 1
	s_addc_u32 s33, s9, 0
	s_add_u32 s34, s5, 2
	s_addc_u32 s35, s9, 0
	s_cmp_lg_u32 s30, 0
	s_cselect_b32 s30, s34, s31
	s_cselect_b32 s31, s35, s33
	s_cmp_lg_u64 s[28:29], 0
	s_subb_u32 s25, s27, s25
	s_cmp_ge_u32 s25, s1
	s_cselect_b32 s27, -1, 0
	s_cmp_ge_u32 s26, s0
	s_cselect_b32 s0, -1, 0
	s_cmp_eq_u32 s25, s1
	s_cselect_b32 s0, s0, s27
	s_cmp_lg_u32 s0, 0
	s_cselect_b32 s1, s31, s9
	s_cselect_b32 s0, s30, s5
	s_xor_b64 s[6:7], s[6:7], 0
	s_xor_b64 s[0:1], s[0:1], s[6:7]
	s_sub_u32 s6, s0, s6
	s_cbranch_execnz .LBB15_11
.LBB15_10:
	s_sub_i32 s0, 0, s22
	v_readfirstlane_b32 s1, v4
	s_mul_i32 s0, s0, s1
	s_mul_hi_u32 s0, s1, s0
	s_add_i32 s1, s1, s0
	s_mul_hi_u32 s0, s8, s1
	s_mul_i32 s5, s0, s22
	s_sub_i32 s5, s8, s5
	s_add_i32 s1, s0, 1
	s_sub_i32 s6, s5, s22
	s_cmp_ge_u32 s5, s22
	s_cselect_b32 s0, s1, s0
	s_cselect_b32 s5, s6, s5
	s_add_i32 s1, s0, 1
	s_cmp_ge_u32 s5, s22
	s_cselect_b32 s6, s1, s0
.LBB15_11:
	s_cmp_lg_u32 s10, s6
	s_mov_b64 s[8:9], -1
                                        ; implicit-def: $sgpr0_sgpr1
                                        ; implicit-def: $vgpr10
                                        ; implicit-def: $vgpr8
                                        ; implicit-def: $vgpr9
                                        ; implicit-def: $sgpr5
                                        ; implicit-def: $sgpr7
	s_cbranch_scc1 .LBB15_14
; %bb.12:
	s_andn2_b64 vcc, exec, s[8:9]
	s_cbranch_vccz .LBB15_17
.LBB15_13:
	s_andn2_b64 vcc, exec, s[0:1]
	s_cbranch_vccnz .LBB15_18
	s_branch .LBB15_22
.LBB15_14:
	s_add_i32 s0, s24, s22
	s_lshl_b32 s0, s0, 4
	s_add_i32 s0, s0, s15
	s_mov_b32 s1, s4
	s_lshl_b64 s[0:1], s[0:1], 3
	s_add_u32 s8, s18, s0
	s_mul_hi_u32 s0, s6, s12
	s_addc_u32 s9, s19, s1
	s_add_i32 s0, s0, s6
	s_lshr_b32 s5, s0, s13
	s_mul_i32 s0, s5, s14
	s_cmp_eq_u32 s0, s6
	s_cselect_b64 s[0:1], -1, 0
	s_cmp_lt_u32 s5, s11
	s_cselect_b64 s[26:27], -1, 0
	s_or_b64 s[26:27], s[26:27], s[0:1]
	s_mov_b64 s[0:1], -1
	s_and_b64 vcc, exec, s[26:27]
	s_mov_b32 s5, s24
	s_mov_b32 s7, s10
	s_cbranch_vccnz .LBB15_16
; %bb.15:
	s_add_i32 s5, s24, -1
	s_mov_b64 s[0:1], 0
	s_mov_b32 s7, s6
.LBB15_16:
	v_lshl_add_u32 v8, s24, 11, v0
	v_ashrrev_i32_e32 v9, 31, v8
	v_lshlrev_b64 v[8:9], 2, v[8:9]
	v_mov_b32_e32 v10, s21
	v_add_co_u32_e32 v8, vcc, s20, v8
	v_addc_co_u32_e32 v9, vcc, v10, v9, vcc
	global_load_dword v10, v[8:9], off
	s_load_dwordx2 s[8:9], s[8:9], 0x0
	v_max_f32_e32 v8, v7, v7
	s_waitcnt lgkmcnt(0)
	v_max_f32_e64 v9, s8, s8
	v_max_f32_e32 v8, v8, v9
	v_sub_f32_e32 v9, v7, v8
	v_sub_f32_e32 v11, s8, v8
	v_mul_f32_e32 v12, 0x3fb8aa3b, v9
	v_mul_f32_e32 v13, 0x3fb8aa3b, v11
	v_fma_f32 v14, v9, s2, -v12
	v_rndne_f32_e32 v15, v12
	v_fma_f32 v16, v11, s2, -v13
	v_rndne_f32_e32 v17, v13
	v_fmac_f32_e32 v14, 0x32a5705f, v9
	v_sub_f32_e32 v12, v12, v15
	v_fmac_f32_e32 v16, 0x32a5705f, v11
	v_sub_f32_e32 v13, v13, v17
	v_add_f32_e32 v12, v12, v14
	v_cvt_i32_f32_e32 v15, v15
	v_add_f32_e32 v13, v13, v16
	v_exp_f32_e32 v12, v12
	v_cvt_i32_f32_e32 v17, v17
	v_exp_f32_e32 v13, v13
	v_cmp_ngt_f32_e32 vcc, s16, v9
	v_ldexp_f32 v12, v12, v15
	v_cndmask_b32_e32 v12, 0, v12, vcc
	v_ldexp_f32 v13, v13, v17
	v_cmp_ngt_f32_e32 vcc, s16, v11
	v_cndmask_b32_e32 v13, 0, v13, vcc
	v_cmp_nlt_f32_e32 vcc, s17, v9
	v_cndmask_b32_e32 v12, v5, v12, vcc
	v_cmp_nlt_f32_e32 vcc, s17, v11
	v_cndmask_b32_e32 v13, v5, v13, vcc
	v_cmp_le_f32_e32 vcc, s23, v9
	v_cndmask_b32_e32 v12, 0, v12, vcc
	v_cmp_le_f32_e32 vcc, s23, v11
	v_cndmask_b32_e32 v11, 0, v13, vcc
	v_mul_f32_e32 v9, s9, v11
	v_fmac_f32_e32 v9, v6, v12
	s_waitcnt vmcnt(0)
	v_mul_f32_e32 v10, v10, v11
	v_fmac_f32_e32 v10, v3, v12
	s_cbranch_execnz .LBB15_13
.LBB15_17:
	s_add_i32 s5, s24, -1
	s_mov_b32 s7, s10
	v_mov_b32_e32 v9, v6
	v_mov_b32_e32 v8, v7
	s_waitcnt vmcnt(0)
	v_mov_b32_e32 v10, v3
	s_cbranch_execz .LBB15_22
.LBB15_18:
	s_mov_b32 s10, s7
	s_mov_b32 s24, s5
	v_mov_b32_e32 v6, v9
	v_mov_b32_e32 v7, v8
	s_waitcnt vmcnt(0)
	v_mov_b32_e32 v3, v10
	s_mul_hi_i32 s5, s24, s3
	s_cmp_lg_u64 s[4:5], 0
	s_mul_i32 s8, s24, s3
	s_cbranch_scc1 .LBB15_9
.LBB15_19:
                                        ; implicit-def: $sgpr6_sgpr7
	s_branch .LBB15_10
.LBB15_20:
                                        ; implicit-def: $sgpr10_sgpr11
	s_load_dwordx4 s[12:15], s[4:5], 0x44
	s_branch .LBB15_2
.LBB15_21:
                                        ; implicit-def: $sgpr18_sgpr19
	s_branch .LBB15_5
.LBB15_22:
	v_div_scale_f32 v0, s[0:1], v9, v9, v10
	s_waitcnt vmcnt(0)
	v_div_scale_f32 v3, vcc, v10, v9, v10
	v_rcp_f32_e32 v4, v0
	v_fma_f32 v5, -v0, v4, 1.0
	v_fmac_f32_e32 v4, v5, v4
	v_mul_f32_e32 v5, v3, v4
	v_fma_f32 v6, -v0, v5, v3
	v_fmac_f32_e32 v5, v6, v4
	v_fma_f32 v0, -v0, v5, v3
	v_div_fmas_f32 v0, v0, v4, v5
	v_div_fixup_f32 v0, v0, v9, v10
	global_store_dword v[1:2], v0, off
.LBB15_23:
	s_endpgm
	.section	.rodata,"a",@progbits
	.p2align	6, 0x0
	.amdhsa_kernel _ZL33flash_attn_stream_k_fixup_generalILi128ELi2ELi8EEvPfPK15HIP_vector_typeIfLj2EEiiiiS1_IjLj3EES5_S5_S5_
		.amdhsa_group_segment_fixed_size 0
		.amdhsa_private_segment_fixed_size 0
		.amdhsa_kernarg_size 336
		.amdhsa_user_sgpr_count 6
		.amdhsa_user_sgpr_private_segment_buffer 1
		.amdhsa_user_sgpr_dispatch_ptr 0
		.amdhsa_user_sgpr_queue_ptr 0
		.amdhsa_user_sgpr_kernarg_segment_ptr 1
		.amdhsa_user_sgpr_dispatch_id 0
		.amdhsa_user_sgpr_flat_scratch_init 0
		.amdhsa_user_sgpr_private_segment_size 0
		.amdhsa_uses_dynamic_stack 0
		.amdhsa_system_sgpr_private_segment_wavefront_offset 0
		.amdhsa_system_sgpr_workgroup_id_x 1
		.amdhsa_system_sgpr_workgroup_id_y 1
		.amdhsa_system_sgpr_workgroup_id_z 1
		.amdhsa_system_sgpr_workgroup_info 0
		.amdhsa_system_vgpr_workitem_id 0
		.amdhsa_next_free_vgpr 18
		.amdhsa_next_free_sgpr 36
		.amdhsa_reserve_vcc 1
		.amdhsa_reserve_flat_scratch 0
		.amdhsa_float_round_mode_32 0
		.amdhsa_float_round_mode_16_64 0
		.amdhsa_float_denorm_mode_32 3
		.amdhsa_float_denorm_mode_16_64 3
		.amdhsa_dx10_clamp 1
		.amdhsa_ieee_mode 1
		.amdhsa_fp16_overflow 0
		.amdhsa_exception_fp_ieee_invalid_op 0
		.amdhsa_exception_fp_denorm_src 0
		.amdhsa_exception_fp_ieee_div_zero 0
		.amdhsa_exception_fp_ieee_overflow 0
		.amdhsa_exception_fp_ieee_underflow 0
		.amdhsa_exception_fp_ieee_inexact 0
		.amdhsa_exception_int_div_zero 0
	.end_amdhsa_kernel
	.section	.text._ZL33flash_attn_stream_k_fixup_generalILi128ELi2ELi8EEvPfPK15HIP_vector_typeIfLj2EEiiiiS1_IjLj3EES5_S5_S5_,"axG",@progbits,_ZL33flash_attn_stream_k_fixup_generalILi128ELi2ELi8EEvPfPK15HIP_vector_typeIfLj2EEiiiiS1_IjLj3EES5_S5_S5_,comdat
.Lfunc_end15:
	.size	_ZL33flash_attn_stream_k_fixup_generalILi128ELi2ELi8EEvPfPK15HIP_vector_typeIfLj2EEiiiiS1_IjLj3EES5_S5_S5_, .Lfunc_end15-_ZL33flash_attn_stream_k_fixup_generalILi128ELi2ELi8EEvPfPK15HIP_vector_typeIfLj2EEiiiiS1_IjLj3EES5_S5_S5_
                                        ; -- End function
	.set _ZL33flash_attn_stream_k_fixup_generalILi128ELi2ELi8EEvPfPK15HIP_vector_typeIfLj2EEiiiiS1_IjLj3EES5_S5_S5_.num_vgpr, 18
	.set _ZL33flash_attn_stream_k_fixup_generalILi128ELi2ELi8EEvPfPK15HIP_vector_typeIfLj2EEiiiiS1_IjLj3EES5_S5_S5_.num_agpr, 0
	.set _ZL33flash_attn_stream_k_fixup_generalILi128ELi2ELi8EEvPfPK15HIP_vector_typeIfLj2EEiiiiS1_IjLj3EES5_S5_S5_.numbered_sgpr, 36
	.set _ZL33flash_attn_stream_k_fixup_generalILi128ELi2ELi8EEvPfPK15HIP_vector_typeIfLj2EEiiiiS1_IjLj3EES5_S5_S5_.num_named_barrier, 0
	.set _ZL33flash_attn_stream_k_fixup_generalILi128ELi2ELi8EEvPfPK15HIP_vector_typeIfLj2EEiiiiS1_IjLj3EES5_S5_S5_.private_seg_size, 0
	.set _ZL33flash_attn_stream_k_fixup_generalILi128ELi2ELi8EEvPfPK15HIP_vector_typeIfLj2EEiiiiS1_IjLj3EES5_S5_S5_.uses_vcc, 1
	.set _ZL33flash_attn_stream_k_fixup_generalILi128ELi2ELi8EEvPfPK15HIP_vector_typeIfLj2EEiiiiS1_IjLj3EES5_S5_S5_.uses_flat_scratch, 0
	.set _ZL33flash_attn_stream_k_fixup_generalILi128ELi2ELi8EEvPfPK15HIP_vector_typeIfLj2EEiiiiS1_IjLj3EES5_S5_S5_.has_dyn_sized_stack, 0
	.set _ZL33flash_attn_stream_k_fixup_generalILi128ELi2ELi8EEvPfPK15HIP_vector_typeIfLj2EEiiiiS1_IjLj3EES5_S5_S5_.has_recursion, 0
	.set _ZL33flash_attn_stream_k_fixup_generalILi128ELi2ELi8EEvPfPK15HIP_vector_typeIfLj2EEiiiiS1_IjLj3EES5_S5_S5_.has_indirect_call, 0
	.section	.AMDGPU.csdata,"",@progbits
; Kernel info:
; codeLenInByte = 2940
; TotalNumSgprs: 40
; NumVgprs: 18
; ScratchSize: 0
; MemoryBound: 0
; FloatMode: 240
; IeeeMode: 1
; LDSByteSize: 0 bytes/workgroup (compile time only)
; SGPRBlocks: 4
; VGPRBlocks: 4
; NumSGPRsForWavesPerEU: 40
; NumVGPRsForWavesPerEU: 18
; Occupancy: 10
; WaveLimiterHint : 0
; COMPUTE_PGM_RSRC2:SCRATCH_EN: 0
; COMPUTE_PGM_RSRC2:USER_SGPR: 6
; COMPUTE_PGM_RSRC2:TRAP_HANDLER: 0
; COMPUTE_PGM_RSRC2:TGID_X_EN: 1
; COMPUTE_PGM_RSRC2:TGID_Y_EN: 1
; COMPUTE_PGM_RSRC2:TGID_Z_EN: 1
; COMPUTE_PGM_RSRC2:TIDIG_COMP_CNT: 0
	.section	.text._ZL15flash_attn_tileILi192ELi128ELi1ELi8ELb0EEvPKcS1_S1_S1_S1_PKiPfP15HIP_vector_typeIfLj2EEffffjfiS5_IjLj3EEiiiiiiiiiiiliiliiiiil,"axG",@progbits,_ZL15flash_attn_tileILi192ELi128ELi1ELi8ELb0EEvPKcS1_S1_S1_S1_PKiPfP15HIP_vector_typeIfLj2EEffffjfiS5_IjLj3EEiiiiiiiiiiiliiliiiiil,comdat
	.globl	_ZL15flash_attn_tileILi192ELi128ELi1ELi8ELb0EEvPKcS1_S1_S1_S1_PKiPfP15HIP_vector_typeIfLj2EEffffjfiS5_IjLj3EEiiiiiiiiiiiliiliiiiil ; -- Begin function _ZL15flash_attn_tileILi192ELi128ELi1ELi8ELb0EEvPKcS1_S1_S1_S1_PKiPfP15HIP_vector_typeIfLj2EEffffjfiS5_IjLj3EEiiiiiiiiiiiliiliiiiil
	.p2align	8
	.type	_ZL15flash_attn_tileILi192ELi128ELi1ELi8ELb0EEvPKcS1_S1_S1_S1_PKiPfP15HIP_vector_typeIfLj2EEffffjfiS5_IjLj3EEiiiiiiiiiiiliiliiiiil,@function
_ZL15flash_attn_tileILi192ELi128ELi1ELi8ELb0EEvPKcS1_S1_S1_S1_PKiPfP15HIP_vector_typeIfLj2EEffffjfiS5_IjLj3EEiiiiiiiiiiiliiliiiiil: ; @_ZL15flash_attn_tileILi192ELi128ELi1ELi8ELb0EEvPKcS1_S1_S1_S1_PKiPfP15HIP_vector_typeIfLj2EEffffjfiS5_IjLj3EEiiiiiiiiiiiliiliiiiil
; %bb.0:
	s_load_dwordx4 s[24:27], s[4:5], 0x5c
	s_load_dwordx2 s[28:29], s[4:5], 0x80
	s_load_dwordx2 s[34:35], s[4:5], 0xb8
	s_mov_b64 s[30:31], 0
	s_waitcnt lgkmcnt(0)
	s_ashr_i32 s0, s27, 31
	s_lshr_b32 s0, s0, 29
	s_add_i32 s0, s27, s0
	s_ashr_i32 s0, s0, 3
	v_cvt_f32_u32_e32 v2, s0
	s_sub_i32 s1, 0, s0
	v_rcp_iflag_f32_e32 v2, v2
	v_mul_f32_e32 v2, 0x4f7ffffe, v2
	v_cvt_u32_f32_e32 v2, v2
	v_readfirstlane_b32 s2, v2
	s_mul_i32 s1, s1, s2
	s_mul_hi_u32 s1, s2, s1
	s_add_i32 s2, s2, s1
	s_mul_hi_u32 s1, s8, s2
	s_mul_i32 s2, s1, s0
	s_sub_i32 s2, s8, s2
	s_add_i32 s3, s1, 1
	s_sub_i32 s9, s2, s0
	s_cmp_ge_u32 s2, s0
	s_cselect_b32 s1, s3, s1
	s_cselect_b32 s2, s9, s2
	s_add_i32 s3, s1, 1
	s_cmp_ge_u32 s2, s0
	s_cselect_b32 s33, s3, s1
	s_abs_i32 s0, s29
	v_cvt_f32_u32_e32 v2, s0
	s_lshl_b32 s1, s8, 3
	s_mul_i32 s8, s33, s27
	s_xor_b32 s2, s27, s29
	v_rcp_iflag_f32_e32 v2, v2
	s_sub_i32 s9, 0, s0
	s_sub_i32 s29, s1, s8
	s_abs_i32 s3, s27
	v_mul_f32_e32 v2, 0x4f7ffffe, v2
	v_cvt_u32_f32_e32 v2, v2
	s_ashr_i32 s2, s2, 31
	v_readfirstlane_b32 s1, v2
	s_mul_i32 s9, s9, s1
	s_mul_hi_u32 s8, s1, s9
	s_add_i32 s1, s1, s8
	s_mul_hi_u32 s1, s3, s1
	s_mul_i32 s8, s1, s0
	s_sub_i32 s3, s3, s8
	s_add_i32 s9, s1, 1
	s_sub_i32 s8, s3, s0
	s_cmp_ge_u32 s3, s0
	s_cselect_b32 s1, s9, s1
	s_cselect_b32 s3, s8, s3
	s_add_i32 s8, s1, 1
	s_cmp_ge_u32 s3, s0
	s_cselect_b32 s0, s8, s1
	s_xor_b32 s0, s0, s2
	s_sub_i32 s37, s0, s2
	s_abs_i32 s36, s37
	v_cvt_f32_u32_e32 v2, s36
	s_load_dwordx16 s[8:23], s[4:5], 0x0
	v_rcp_iflag_f32_e32 v2, v2
	s_waitcnt lgkmcnt(0)
	s_cmp_eq_u64 s[14:15], 0
	v_mul_f32_e32 v2, 0x4f7ffffe, v2
	v_cvt_u32_f32_e32 v2, v2
	v_readfirstlane_b32 s38, v2
	s_cbranch_scc1 .LBB16_2
; %bb.1:
	s_abs_i32 s2, s34
	v_cvt_f32_u32_e32 v2, s2
	s_sub_i32 s31, 0, s2
	s_abs_i32 s30, s33
	s_ashr_i32 s3, s33, 31
	v_rcp_iflag_f32_e32 v2, v2
	s_load_dwordx2 s[0:1], s[4:5], 0xc8
	v_mul_f32_e32 v2, 0x4f7ffffe, v2
	v_cvt_u32_f32_e32 v2, v2
	v_readfirstlane_b32 s34, v2
	s_mul_i32 s31, s31, s34
	s_mul_hi_u32 s31, s34, s31
	s_add_i32 s34, s34, s31
	s_mul_hi_u32 s31, s30, s34
	s_mul_i32 s31, s31, s2
	s_sub_i32 s30, s30, s31
	s_sub_i32 s31, s30, s2
	s_cmp_ge_u32 s30, s2
	s_cselect_b32 s30, s31, s30
	s_sub_i32 s31, s30, s2
	s_cmp_ge_u32 s30, s2
	s_cselect_b32 s2, s31, s30
	s_xor_b32 s2, s2, s3
	s_sub_i32 s2, s2, s3
	s_ashr_i32 s3, s2, 31
	s_waitcnt lgkmcnt(0)
	s_mul_hi_u32 s30, s0, s2
	s_mul_i32 s3, s0, s3
	s_mul_i32 s1, s1, s2
	s_add_i32 s3, s30, s3
	s_add_i32 s3, s3, s1
	s_mul_i32 s0, s0, s2
	s_add_u32 s30, s14, s0
	s_addc_u32 s31, s15, s3
.LBB16_2:
	s_load_dwordx4 s[0:3], s[4:5], 0x70
	v_lshrrev_b32_e32 v2, 3, v1
	v_add_u32_e32 v24, s6, v2
	v_mul_hi_u32 v4, s24, v24
	v_and_b32_e32 v25, 7, v1
	s_waitcnt lgkmcnt(0)
	s_mul_i32 s2, s33, s2
	s_ashr_i32 s14, s2, 31
	s_mul_i32 s3, s29, s1
	s_add_u32 s2, s8, s2
	v_add_u32_e32 v4, v24, v4
	s_addc_u32 s8, s9, s14
	s_ashr_i32 s9, s3, 31
	v_lshrrev_b32_e32 v4, s25, v4
	s_add_u32 s14, s2, s3
	v_mul_lo_u32 v4, v4, s26
	s_addc_u32 s15, s8, s9
	s_ashr_i32 s3, s1, 31
	s_mov_b32 s2, s1
	s_lshr_b64 s[8:9], s[2:3], 2
	v_mad_u64_u32 v[2:3], s[8:9], s8, v25, 0
	s_ashr_i32 s1, s0, 31
	v_sub_u32_e32 v4, v24, v4
	s_lshr_b64 s[8:9], s[0:1], 2
	v_mad_u64_u32 v[5:6], s[8:9], s8, v4, 0
	s_lshr_b32 s0, s3, 2
	v_mad_u64_u32 v[7:8], s[2:3], s0, v25, v[3:4]
	v_mov_b32_e32 v3, v6
	s_lshr_b32 s0, s1, 2
	v_mad_u64_u32 v[8:9], s[0:1], s0, v4, v[3:4]
	v_mov_b32_e32 v3, v7
	v_lshlrev_b64 v[2:3], 2, v[2:3]
	v_mov_b32_e32 v6, v8
	v_mov_b32_e32 v7, s15
	v_add_co_u32_e32 v8, vcc, s14, v2
	v_addc_co_u32_e32 v7, vcc, v7, v3, vcc
	v_lshlrev_b64 v[2:3], 2, v[5:6]
	v_lshlrev_b32_e32 v5, 4, v0
	v_add_co_u32_e32 v2, vcc, v8, v2
	v_addc_co_u32_e32 v3, vcc, v7, v3, vcc
	v_add_co_u32_e32 v2, vcc, v2, v5
	v_addc_co_u32_e32 v3, vcc, 0, v3, vcc
	global_load_dwordx4 v[6:9], v[2:3], off
	s_load_dword s2, s[4:5], 0x40
	s_movk_i32 s0, 0x180
	v_mov_b32_e32 v5, 0x2400
	v_lshlrev_b32_e32 v27, 3, v0
	v_mad_u32_u24 v28, v1, s0, v5
	v_add_u32_e32 v5, v28, v27
	v_cmp_gt_u32_e32 vcc, 16, v0
	s_waitcnt vmcnt(0) lgkmcnt(0)
	v_fma_mixlo_f16 v6, s2, v6, 0
	v_fma_mixlo_f16 v7, s2, v7, 0
	;; [unrolled: 1-line block ×4, first 2 shown]
	v_lshlrev_b32_e32 v7, 16, v7
	v_and_b32_e32 v6, 0xffff, v6
	v_lshlrev_b32_e32 v9, 16, v9
	v_and_b32_e32 v8, 0xffff, v8
	v_or_b32_e32 v6, v7, v6
	v_or3_b32 v7, v9, v8, 0
	v_or3_b32 v6, 0, 0, v6
	ds_write_b64 v5, v[6:7]
	s_and_saveexec_b64 s[0:1], vcc
	s_cbranch_execz .LBB16_4
; %bb.3:
	global_load_dwordx4 v[6:9], v[2:3], off offset:512
	s_waitcnt vmcnt(0)
	v_fma_mixlo_f16 v2, s2, v6, 0
	v_fma_mixlo_f16 v3, s2, v7, 0
	;; [unrolled: 1-line block ×4, first 2 shown]
	v_lshlrev_b32_e32 v3, 16, v3
	v_and_b32_e32 v2, 0xffff, v2
	v_lshlrev_b32_e32 v7, 16, v7
	v_and_b32_e32 v6, 0xffff, v6
	v_or_b32_e32 v2, v3, v2
	v_or3_b32 v3, v7, v6, 0
	v_or3_b32 v2, 0, 0, v2
	ds_write_b64 v5, v[2:3] offset:256
.LBB16_4:
	s_or_b64 exec, exec, s[0:1]
	s_cmp_eq_u64 s[18:19], 0
	s_waitcnt lgkmcnt(0)
	s_barrier
	s_cbranch_scc1 .LBB16_6
; %bb.5:
	s_load_dword s0, s[4:5], 0xd0
	s_mov_b32 s1, 0
	s_waitcnt lgkmcnt(0)
	s_mul_i32 s0, s0, s33
	s_add_i32 s0, s0, s6
	s_lshl_b64 s[0:1], s[0:1], 2
	s_add_u32 s0, s18, s0
	s_addc_u32 s1, s19, s1
	s_load_dword s28, s[0:1], 0x0
.LBB16_6:
	s_lshl_b32 s6, s7, 6
	s_waitcnt lgkmcnt(0)
	s_cmp_lt_i32 s6, s28
	v_mbcnt_lo_u32_b32 v2, -1, 0
	s_cbranch_scc1 .LBB16_9
; %bb.7:
	v_mbcnt_hi_u32_b32 v29, -1, v2
	v_and_b32_e32 v3, 0x60, v29
	v_add_u32_e32 v30, 32, v3
	v_xor_b32_e32 v35, 16, v29
	v_xor_b32_e32 v34, 8, v29
	;; [unrolled: 1-line block ×5, first 2 shown]
	v_lshlrev_b32_e32 v26, 2, v0
	s_cbranch_execz .LBB16_10
; %bb.8:
	v_mov_b32_e32 v51, 0
	v_mov_b32_e32 v23, 0
	;; [unrolled: 1-line block ×4, first 2 shown]
	s_branch .LBB16_12
.LBB16_9:
                                        ; implicit-def: $vgpr29
                                        ; implicit-def: $vgpr30
                                        ; implicit-def: $vgpr35
                                        ; implicit-def: $vgpr34
                                        ; implicit-def: $vgpr33
                                        ; implicit-def: $vgpr31
                                        ; implicit-def: $vgpr32
	v_lshlrev_b32_e32 v26, 2, v0
.LBB16_10:
	s_sub_i32 s0, 0, s36
	s_mul_i32 s0, s0, s38
	s_mul_hi_u32 s0, s38, s0
	s_add_i32 s38, s38, s0
	s_load_dwordx2 s[8:9], s[4:5], 0x8c
	s_load_dwordx4 s[0:3], s[4:5], 0x98
	s_abs_i32 s24, s29
	s_mul_hi_u32 s25, s24, s38
	s_ashr_i32 s34, s29, 31
	s_waitcnt lgkmcnt(0)
	s_ashr_i32 s15, s8, 2
	s_ashr_i32 s8, s33, 31
	;; [unrolled: 1-line block ×4, first 2 shown]
	s_mul_hi_u32 s35, s0, s33
	s_mul_i32 s38, s0, s8
	s_add_i32 s35, s35, s38
	s_mul_i32 s1, s1, s33
	s_ashr_i32 s37, s37, 31
	s_add_i32 s35, s35, s1
	s_mul_i32 s0, s0, s33
	s_add_u32 s0, s10, s0
	s_addc_u32 s1, s11, s35
	s_mul_i32 s11, s25, s36
	s_sub_i32 s11, s24, s11
	s_xor_b32 s10, s34, s37
	s_add_i32 s24, s25, 1
	s_sub_i32 s34, s11, s36
	s_cmp_ge_u32 s11, s36
	s_cselect_b32 s24, s24, s25
	s_cselect_b32 s11, s34, s11
	s_add_i32 s25, s24, 1
	s_cmp_ge_u32 s11, s36
	s_cselect_b32 s11, s25, s24
	s_load_dwordx2 s[18:19], s[4:5], 0xa8
	s_xor_b32 s11, s11, s10
	s_sub_i32 s24, s11, s10
	s_mul_i32 s9, s24, s9
	s_ashr_i32 s11, s9, 31
	s_add_u32 s10, s0, s9
	s_addc_u32 s11, s1, s11
	s_waitcnt lgkmcnt(0)
	s_mul_hi_u32 s0, s18, s33
	s_mul_i32 s1, s18, s8
	s_add_i32 s0, s0, s1
	s_mul_i32 s1, s19, s33
	s_add_i32 s0, s0, s1
	s_mul_i32 s1, s18, s33
	s_add_u32 s1, s12, s1
	s_mul_i32 s24, s24, s3
	s_addc_u32 s0, s13, s0
	s_ashr_i32 s3, s24, 31
	s_add_u32 s12, s1, s24
	v_lshrrev_b32_e32 v3, 3, v0
	v_and_b32_e32 v12, 28, v26
	s_addc_u32 s13, s0, s3
	v_lshl_add_u32 v3, v1, 2, v3
	v_lshlrev_b32_e32 v6, 2, v12
	s_movk_i32 s0, 0x90
	v_mul_lo_u32 v5, s15, v3
	v_mad_u32_u24 v36, v3, s0, v6
	v_mov_b32_e32 v3, 0x3000
	v_lshl_add_u32 v39, v1, 7, v3
	v_lshrrev_b32_e32 v3, 4, v0
	v_mad_u64_u32 v[9:10], s[0:1], v4, s2, v[0:1]
	v_lshl_add_u32 v1, v1, 1, v3
	v_mul_lo_u32 v3, s14, v1
	v_and_b32_e32 v18, 60, v26
	v_lshl_add_u32 v7, s15, 5, v5
	v_lshlrev_b32_e32 v4, 2, v18
	v_lshl_add_u32 v16, s14, 4, v3
	v_ashrrev_i32_e32 v6, 31, v5
	v_ashrrev_i32_e32 v8, 31, v7
	v_lshl_or_b32 v41, v1, 8, v4
	v_ashrrev_i32_e32 v4, 31, v3
	v_ashrrev_i32_e32 v17, 31, v16
	v_mbcnt_hi_u32_b32 v29, -1, v2
	s_add_u32 s8, s4, 0xd0
	v_lshlrev_b64 v[10:11], 2, v[5:6]
	v_lshlrev_b32_e32 v43, 2, v12
	v_lshlrev_b64 v[12:13], 2, v[7:8]
	v_and_b32_e32 v2, 0x60, v29
	v_lshlrev_b64 v[14:15], 2, v[3:4]
	v_lshlrev_b64 v[16:17], 2, v[16:17]
	v_mov_b32_e32 v50, 0
	v_add_u32_e32 v37, 0x1200, v36
	v_mul_u32_u24_e32 v38, 0x90, v0
	v_lshl_add_u32 v40, v0, 1, v39
	v_add_u32_e32 v42, 0x1000, v41
	s_addc_u32 s9, s5, 0
	v_mov_b32_e32 v1, 0xfeffffff
	v_add_u32_e32 v30, 32, v2
	v_xor_b32_e32 v35, 16, v29
	v_xor_b32_e32 v34, 8, v29
	;; [unrolled: 1-line block ×5, first 2 shown]
	v_mov_b32_e32 v44, s31
	s_mov_b32 s18, 0x3fb8aa3b
	s_mov_b32 s19, 0xc2ce8ed0
	s_mov_b32 s24, 0x42b17218
	v_mov_b32_e32 v45, 0x7f800000
	s_mov_b32 s25, 0x10001
	v_lshlrev_b32_e32 v46, 2, v18
	v_add_u32_e32 v47, 0x800, v27
	v_add_u32_e32 v48, 0x1000, v27
	;; [unrolled: 1-line block ×3, first 2 shown]
	v_mov_b32_e32 v51, 0
	v_mov_b32_e32 v23, 0
.LBB16_11:                              ; =>This Inner Loop Header: Depth=1
	s_mul_hi_i32 s1, s6, s15
	s_mul_i32 s0, s6, s15
	s_lshl_b64 s[0:1], s[0:1], 2
	s_add_u32 s2, s10, s0
	s_addc_u32 s0, s11, s1
	v_mov_b32_e32 v52, v1
	v_mov_b32_e32 v1, s0
	;; [unrolled: 1-line block ×3, first 2 shown]
	v_add_co_u32_e64 v3, s[0:1], s2, v12
	v_add_co_u32_e64 v4, s[2:3], s2, v10
	v_addc_co_u32_e64 v1, s[2:3], v1, v11, s[2:3]
	v_addc_co_u32_e64 v2, s[0:1], v2, v13, s[0:1]
	v_add_co_u32_e64 v18, s[2:3], v4, v43
	v_add_co_u32_e64 v20, s[0:1], v3, v43
	v_addc_co_u32_e64 v19, s[2:3], 0, v1, s[2:3]
	v_addc_co_u32_e64 v21, s[0:1], 0, v2, s[0:1]
	global_load_dwordx4 v[1:4], v[18:19], off
	global_load_dwordx4 v[5:8], v[20:21], off
	v_mov_b32_e32 v53, 0
	v_mov_b32_e32 v54, 0
	v_cmp_lt_i32_e32 vcc, v35, v30
	v_add_u32_e32 v22, s6, v9
	v_cndmask_b32_e32 v56, v29, v35, vcc
	v_cmp_lt_i32_e32 vcc, v34, v30
	v_cndmask_b32_e32 v57, v29, v34, vcc
	v_cmp_lt_i32_e32 vcc, v33, v30
	v_mov_b32_e32 v55, v23
	v_ashrrev_i32_e32 v23, 31, v22
	v_cndmask_b32_e32 v58, v29, v33, vcc
	v_cmp_lt_i32_e32 vcc, v31, v30
	v_lshlrev_b64 v[22:23], 1, v[22:23]
	s_mul_hi_i32 s1, s6, s14
	s_mul_i32 s0, s6, s14
	s_lshl_b64 s[0:1], s[0:1], 2
	s_add_u32 s0, s12, s0
	s_addc_u32 s1, s13, s1
	s_or_b32 s2, s6, 32
	s_mul_hi_i32 s3, s2, s14
	s_mul_i32 s2, s2, s14
	s_lshl_b64 s[2:3], s[2:3], 2
	v_lshlrev_b32_e32 v58, 2, v58
	s_waitcnt vmcnt(1)
	ds_write_b128 v36, v[1:4]
	s_waitcnt vmcnt(0)
	ds_write_b128 v37, v[5:8]
	s_waitcnt lgkmcnt(0)
	s_barrier
	ds_read_b128 v[1:4], v38
	ds_read_b128 v[5:8], v28
	ds_read_b128 v[59:62], v38 offset:4608
	s_waitcnt lgkmcnt(1)
	;;#ASMSTART
	v_dot2_f32_f16 v53, v1, v5, v53
	;;#ASMEND
	;;#ASMSTART
	v_dot2_f32_f16 v53, v2, v6, v53
	;;#ASMEND
	;;#ASMSTART
	v_dot2_f32_f16 v53, v3, v7, v53
	;;#ASMEND
	;;#ASMSTART
	v_dot2_f32_f16 v53, v4, v8, v53
	;;#ASMEND
	s_waitcnt lgkmcnt(0)
	;;#ASMSTART
	v_dot2_f32_f16 v54, v59, v5, v54
	;;#ASMEND
	;;#ASMSTART
	v_dot2_f32_f16 v54, v60, v6, v54
	;;#ASMEND
	;;#ASMSTART
	v_dot2_f32_f16 v54, v61, v7, v54
	;;#ASMEND
	;;#ASMSTART
	v_dot2_f32_f16 v54, v62, v8, v54
	;;#ASMEND
	ds_read_b128 v[1:4], v38 offset:16
	ds_read_b128 v[5:8], v28 offset:16
	ds_read_b128 v[59:62], v38 offset:4624
	s_waitcnt lgkmcnt(1)
	;;#ASMSTART
	v_dot2_f32_f16 v53, v1, v5, v53
	;;#ASMEND
	;;#ASMSTART
	v_dot2_f32_f16 v53, v2, v6, v53
	;;#ASMEND
	;;#ASMSTART
	v_dot2_f32_f16 v53, v3, v7, v53
	;;#ASMEND
	;;#ASMSTART
	v_dot2_f32_f16 v53, v4, v8, v53
	;;#ASMEND
	s_waitcnt lgkmcnt(0)
	;;#ASMSTART
	v_dot2_f32_f16 v54, v59, v5, v54
	;;#ASMEND
	;;#ASMSTART
	v_dot2_f32_f16 v54, v60, v6, v54
	;;#ASMEND
	;;#ASMSTART
	v_dot2_f32_f16 v54, v61, v7, v54
	;;#ASMEND
	;;#ASMSTART
	v_dot2_f32_f16 v54, v62, v8, v54
	;;#ASMEND
	ds_read_b128 v[1:4], v38 offset:32
	ds_read_b128 v[5:8], v28 offset:32
	;; [unrolled: 29-line block ×7, first 2 shown]
	ds_read_b128 v[59:62], v38 offset:4720
	s_waitcnt lgkmcnt(1)
	;;#ASMSTART
	v_dot2_f32_f16 v53, v1, v5, v53
	;;#ASMEND
	;;#ASMSTART
	v_dot2_f32_f16 v53, v2, v6, v53
	;;#ASMEND
	;; [unrolled: 3-line block ×4, first 2 shown]
	s_waitcnt lgkmcnt(0)
	;;#ASMSTART
	v_dot2_f32_f16 v54, v59, v5, v54
	;;#ASMEND
	;;#ASMSTART
	v_dot2_f32_f16 v54, v60, v6, v54
	;;#ASMEND
	;; [unrolled: 3-line block ×4, first 2 shown]
	s_barrier
	global_load_dwordx4 v[1:4], v[18:19], off offset:128
	global_load_dwordx4 v[5:8], v[20:21], off offset:128
	s_waitcnt vmcnt(1)
	ds_write_b128 v36, v[1:4]
	s_waitcnt vmcnt(0)
	ds_write_b128 v37, v[5:8]
	s_waitcnt lgkmcnt(0)
	s_barrier
	ds_read_b128 v[1:4], v38
	ds_read_b128 v[5:8], v28 offset:128
	ds_read_b128 v[59:62], v38 offset:4608
	s_waitcnt lgkmcnt(1)
	;;#ASMSTART
	v_dot2_f32_f16 v53, v1, v5, v53
	;;#ASMEND
	;;#ASMSTART
	v_dot2_f32_f16 v53, v2, v6, v53
	;;#ASMEND
	;;#ASMSTART
	v_dot2_f32_f16 v53, v3, v7, v53
	;;#ASMEND
	;;#ASMSTART
	v_dot2_f32_f16 v53, v4, v8, v53
	;;#ASMEND
	s_waitcnt lgkmcnt(0)
	;;#ASMSTART
	v_dot2_f32_f16 v54, v59, v5, v54
	;;#ASMEND
	;;#ASMSTART
	v_dot2_f32_f16 v54, v60, v6, v54
	;;#ASMEND
	;;#ASMSTART
	v_dot2_f32_f16 v54, v61, v7, v54
	;;#ASMEND
	;;#ASMSTART
	v_dot2_f32_f16 v54, v62, v8, v54
	;;#ASMEND
	ds_read_b128 v[1:4], v38 offset:16
	ds_read_b128 v[5:8], v28 offset:144
	ds_read_b128 v[59:62], v38 offset:4624
	s_waitcnt lgkmcnt(1)
	;;#ASMSTART
	v_dot2_f32_f16 v53, v1, v5, v53
	;;#ASMEND
	;;#ASMSTART
	v_dot2_f32_f16 v53, v2, v6, v53
	;;#ASMEND
	;;#ASMSTART
	v_dot2_f32_f16 v53, v3, v7, v53
	;;#ASMEND
	;;#ASMSTART
	v_dot2_f32_f16 v53, v4, v8, v53
	;;#ASMEND
	s_waitcnt lgkmcnt(0)
	;;#ASMSTART
	v_dot2_f32_f16 v54, v59, v5, v54
	;;#ASMEND
	;;#ASMSTART
	v_dot2_f32_f16 v54, v60, v6, v54
	;;#ASMEND
	;;#ASMSTART
	v_dot2_f32_f16 v54, v61, v7, v54
	;;#ASMEND
	;;#ASMSTART
	v_dot2_f32_f16 v54, v62, v8, v54
	;;#ASMEND
	ds_read_b128 v[1:4], v38 offset:32
	;; [unrolled: 29-line block ×7, first 2 shown]
	ds_read_b128 v[1:4], v28 offset:240
	ds_read_b128 v[5:8], v38 offset:4720
	s_waitcnt lgkmcnt(1)
	;;#ASMSTART
	v_dot2_f32_f16 v53, v59, v1, v53
	;;#ASMEND
	;;#ASMSTART
	v_dot2_f32_f16 v53, v60, v2, v53
	;;#ASMEND
	;; [unrolled: 3-line block ×4, first 2 shown]
	s_waitcnt lgkmcnt(0)
	;;#ASMSTART
	v_dot2_f32_f16 v54, v5, v1, v54
	;;#ASMEND
	;;#ASMSTART
	v_dot2_f32_f16 v54, v6, v2, v54
	;;#ASMEND
	;; [unrolled: 3-line block ×4, first 2 shown]
	s_barrier
	global_load_dwordx4 v[1:4], v[18:19], off offset:256
	global_load_dwordx4 v[5:8], v[20:21], off offset:256
	v_cndmask_b32_e32 v61, v29, v31, vcc
	v_cmp_lt_i32_e32 vcc, v32, v30
	v_cndmask_b32_e32 v62, v29, v32, vcc
	v_add_co_u32_e32 v22, vcc, s30, v22
	v_addc_co_u32_e32 v23, vcc, v44, v23, vcc
	v_lshlrev_b32_e32 v60, 2, v56
	v_lshlrev_b32_e32 v59, 2, v57
	;; [unrolled: 1-line block ×4, first 2 shown]
	v_mov_b32_e32 v61, s1
	v_mov_b32_e32 v62, s1
	s_waitcnt vmcnt(1)
	ds_write_b128 v36, v[1:4]
	s_waitcnt vmcnt(0)
	ds_write_b128 v37, v[5:8]
	s_waitcnt lgkmcnt(0)
	s_barrier
	ds_read_b128 v[1:4], v38
	ds_read_b128 v[5:8], v28 offset:256
	ds_read_b128 v[18:21], v38 offset:4608
	s_waitcnt lgkmcnt(1)
	;;#ASMSTART
	v_dot2_f32_f16 v53, v1, v5, v53
	;;#ASMEND
	;;#ASMSTART
	v_dot2_f32_f16 v53, v2, v6, v53
	;;#ASMEND
	;;#ASMSTART
	v_dot2_f32_f16 v53, v3, v7, v53
	;;#ASMEND
	;;#ASMSTART
	v_dot2_f32_f16 v53, v4, v8, v53
	;;#ASMEND
	s_waitcnt lgkmcnt(0)
	;;#ASMSTART
	v_dot2_f32_f16 v54, v18, v5, v54
	;;#ASMEND
	;;#ASMSTART
	v_dot2_f32_f16 v54, v19, v6, v54
	;;#ASMEND
	;;#ASMSTART
	v_dot2_f32_f16 v54, v20, v7, v54
	;;#ASMEND
	;;#ASMSTART
	v_dot2_f32_f16 v54, v21, v8, v54
	;;#ASMEND
	ds_read_b128 v[1:4], v38 offset:16
	ds_read_b128 v[5:8], v28 offset:272
	ds_read_b128 v[18:21], v38 offset:4624
	s_waitcnt lgkmcnt(1)
	;;#ASMSTART
	v_dot2_f32_f16 v53, v1, v5, v53
	;;#ASMEND
	;;#ASMSTART
	v_dot2_f32_f16 v53, v2, v6, v53
	;;#ASMEND
	;;#ASMSTART
	v_dot2_f32_f16 v53, v3, v7, v53
	;;#ASMEND
	;;#ASMSTART
	v_dot2_f32_f16 v53, v4, v8, v53
	;;#ASMEND
	s_waitcnt lgkmcnt(0)
	;;#ASMSTART
	v_dot2_f32_f16 v54, v18, v5, v54
	;;#ASMEND
	;;#ASMSTART
	v_dot2_f32_f16 v54, v19, v6, v54
	;;#ASMEND
	;;#ASMSTART
	v_dot2_f32_f16 v54, v20, v7, v54
	;;#ASMEND
	;;#ASMSTART
	v_dot2_f32_f16 v54, v21, v8, v54
	;;#ASMEND
	ds_read_b128 v[1:4], v38 offset:32
	;; [unrolled: 29-line block ×7, first 2 shown]
	ds_read_b128 v[5:8], v28 offset:368
	ds_read_b128 v[18:21], v38 offset:4720
	s_waitcnt lgkmcnt(1)
	;;#ASMSTART
	v_dot2_f32_f16 v53, v1, v5, v53
	;;#ASMEND
	;;#ASMSTART
	v_dot2_f32_f16 v53, v2, v6, v53
	;;#ASMEND
	;; [unrolled: 3-line block ×4, first 2 shown]
	s_waitcnt lgkmcnt(0)
	;;#ASMSTART
	v_dot2_f32_f16 v54, v18, v5, v54
	;;#ASMEND
	;;#ASMSTART
	v_dot2_f32_f16 v54, v19, v6, v54
	;;#ASMEND
	;; [unrolled: 3-line block ×4, first 2 shown]
	global_load_ushort v8, v[22:23], off
	global_load_ushort v65, v[22:23], off offset:64
	v_add_co_u32_e32 v1, vcc, s0, v16
	v_add_co_u32_e64 v2, s[0:1], s0, v14
	v_addc_co_u32_e64 v3, s[0:1], v61, v15, s[0:1]
	v_addc_co_u32_e32 v4, vcc, v62, v17, vcc
	v_add_co_u32_e32 v61, vcc, v1, v46
	v_add_co_u32_e64 v1, s[0:1], v2, v46
	v_addc_co_u32_e64 v2, s[0:1], 0, v3, s[0:1]
	s_add_u32 s0, s12, s2
	v_addc_co_u32_e32 v62, vcc, 0, v4, vcc
	s_addc_u32 s1, s13, s3
	v_mov_b32_e32 v3, s1
	v_mov_b32_e32 v4, s1
	v_add_co_u32_e32 v5, vcc, s0, v16
	v_add_co_u32_e64 v7, s[0:1], s0, v14
	v_addc_co_u32_e64 v3, s[0:1], v3, v15, s[0:1]
	v_addc_co_u32_e32 v4, vcc, v4, v17, vcc
	v_add_co_u32_e32 v6, vcc, v5, v46
	v_add_co_u32_e64 v63, s[0:1], v7, v46
	v_addc_co_u32_e64 v64, s[0:1], 0, v3, s[0:1]
	v_addc_co_u32_e32 v7, vcc, 0, v4, vcc
	s_waitcnt vmcnt(0)
	s_barrier
	global_load_dwordx4 v[2:5], v[1:2], off
	s_nop 0
	global_load_dwordx4 v[18:21], v[61:62], off
	v_cvt_f32_f16_e32 v1, v8
	v_cvt_f32_f16_e32 v8, v65
	v_add_f32_e32 v22, v53, v1
	v_add_f32_e32 v8, v54, v8
	;; [unrolled: 1-line block ×4, first 2 shown]
	v_max3_f32 v1, v52, v1, v23
	ds_bpermute_b32 v23, v60, v1
	s_waitcnt lgkmcnt(0)
	v_max_f32_e32 v23, v23, v23
	v_max_f32_e32 v1, v1, v23
	ds_bpermute_b32 v23, v59, v1
	s_waitcnt lgkmcnt(0)
	v_max_f32_e32 v23, v23, v23
	v_max_f32_e32 v1, v1, v23
	;; [unrolled: 4-line block ×5, first 2 shown]
	v_sub_f32_e32 v22, v22, v1
	v_sub_f32_e32 v8, v8, v1
	;; [unrolled: 1-line block ×3, first 2 shown]
	v_mul_f32_e32 v52, 0x3fb8aa3b, v22
	v_mul_f32_e32 v53, 0x3fb8aa3b, v8
	v_fma_f32 v56, v22, s18, -v52
	v_rndne_f32_e32 v57, v52
	v_fma_f32 v58, v8, s18, -v53
	v_rndne_f32_e32 v59, v53
	v_mul_f32_e32 v54, 0x3fb8aa3b, v23
	v_fmac_f32_e32 v56, 0x32a5705f, v22
	v_sub_f32_e32 v52, v52, v57
	v_fmac_f32_e32 v58, 0x32a5705f, v8
	v_sub_f32_e32 v53, v53, v59
	v_add_f32_e32 v52, v52, v56
	v_fma_f32 v56, v23, s18, -v54
	v_add_f32_e32 v53, v53, v58
	v_rndne_f32_e32 v58, v54
	v_cvt_i32_f32_e32 v57, v57
	v_fmac_f32_e32 v56, 0x32a5705f, v23
	v_sub_f32_e32 v54, v54, v58
	v_exp_f32_e32 v52, v52
	v_cvt_i32_f32_e32 v59, v59
	v_add_f32_e32 v54, v54, v56
	v_exp_f32_e32 v53, v53
	v_cvt_i32_f32_e32 v58, v58
	v_exp_f32_e32 v54, v54
	v_ldexp_f32 v52, v52, v57
	v_cmp_ngt_f32_e64 s[2:3], s19, v22
	v_ldexp_f32 v53, v53, v59
	v_cmp_ngt_f32_e32 vcc, s19, v8
	v_cndmask_b32_e64 v52, 0, v52, s[2:3]
	v_cmp_nlt_f32_e64 s[2:3], s24, v22
	v_ldexp_f32 v54, v54, v58
	v_cmp_ngt_f32_e64 s[0:1], s19, v23
	v_cndmask_b32_e32 v53, 0, v53, vcc
	v_cmp_nlt_f32_e32 vcc, s24, v8
	v_cndmask_b32_e64 v22, v45, v52, s[2:3]
	v_cndmask_b32_e64 v8, 0, v54, s[0:1]
	v_cmp_nlt_f32_e64 s[0:1], s24, v23
	v_cndmask_b32_e32 v23, v45, v53, vcc
	v_cvt_f16_f32_e32 v52, v22
	v_cvt_f16_f32_e32 v53, v23
	v_cndmask_b32_e64 v8, v45, v8, s[0:1]
	ds_write_b16 v40, v52
	ds_write_b16 v40, v53 offset:64
	s_waitcnt vmcnt(1)
	ds_write_b128 v41, v[2:5]
	s_waitcnt vmcnt(0)
	ds_write_b128 v42, v[18:21]
	s_waitcnt lgkmcnt(0)
	s_barrier
	ds_read_b128 v[2:5], v39
	ds_read2_b64 v[18:21], v27 offset1:32
	v_cvt_f16_f32_e32 v54, v8
	v_add_f32_e32 v22, v22, v23
	v_mov_b32_e32 v23, v22
	s_waitcnt lgkmcnt(1)
	v_mul_u32_u24_sdwa v22, v2, s25 dst_sel:DWORD dst_unused:UNUSED_PAD src0_sel:WORD_0 src1_sel:DWORD
	v_fmac_f32_e32 v23, v55, v8
	v_mul_u32_u24_e32 v8, 0x10001, v54
	s_waitcnt lgkmcnt(0)
	v_pk_mul_f16 v18, v18, v22
	ds_read2_b64 v[56:59], v27 offset0:64 offset1:96
	v_pk_mul_f16 v19, v19, v22
	v_pk_fma_f16 v18, v50, v8, v18
	v_pk_fma_f16 v8, v51, v8, v19
	v_mul_u32_u24_sdwa v2, v2, s25 dst_sel:DWORD dst_unused:UNUSED_PAD src0_sel:WORD_1 src1_sel:DWORD
	v_pk_fma_f16 v22, v20, v2, v18
	v_pk_fma_f16 v2, v21, v2, v8
	ds_read2_b64 v[18:21], v27 offset0:128 offset1:160
	v_mul_u32_u24_sdwa v8, v3, s25 dst_sel:DWORD dst_unused:UNUSED_PAD src0_sel:WORD_0 src1_sel:DWORD
	v_mul_u32_u24_sdwa v3, v3, s25 dst_sel:DWORD dst_unused:UNUSED_PAD src0_sel:WORD_1 src1_sel:DWORD
	s_waitcnt lgkmcnt(1)
	v_pk_fma_f16 v22, v56, v8, v22
	v_pk_fma_f16 v2, v57, v8, v2
	;; [unrolled: 1-line block ×4, first 2 shown]
	ds_read2_b64 v[56:59], v27 offset0:192 offset1:224
	v_mul_u32_u24_sdwa v3, v4, s25 dst_sel:DWORD dst_unused:UNUSED_PAD src0_sel:WORD_0 src1_sel:DWORD
	ds_read_b128 v[52:55], v39 offset:16
	v_mul_u32_u24_sdwa v4, v4, s25 dst_sel:DWORD dst_unused:UNUSED_PAD src0_sel:WORD_1 src1_sel:DWORD
	s_waitcnt lgkmcnt(2)
	v_pk_fma_f16 v8, v18, v3, v8
	v_pk_fma_f16 v2, v19, v3, v2
	;; [unrolled: 1-line block ×4, first 2 shown]
	v_mul_u32_u24_sdwa v50, v5, s25 dst_sel:DWORD dst_unused:UNUSED_PAD src0_sel:WORD_0 src1_sel:DWORD
	v_mul_u32_u24_sdwa v51, v5, s25 dst_sel:DWORD dst_unused:UNUSED_PAD src0_sel:WORD_1 src1_sel:DWORD
	ds_read2_b64 v[2:5], v47 offset1:32
	s_waitcnt lgkmcnt(2)
	v_pk_fma_f16 v8, v56, v50, v8
	v_pk_fma_f16 v22, v57, v50, v22
	ds_read_b128 v[18:21], v39 offset:32
	v_pk_fma_f16 v8, v58, v51, v8
	v_pk_fma_f16 v22, v59, v51, v22
	ds_read2_b64 v[56:59], v47 offset0:64 offset1:96
	s_waitcnt lgkmcnt(3)
	v_mul_u32_u24_sdwa v50, v52, s25 dst_sel:DWORD dst_unused:UNUSED_PAD src0_sel:WORD_0 src1_sel:DWORD
	v_mul_u32_u24_sdwa v51, v52, s25 dst_sel:DWORD dst_unused:UNUSED_PAD src0_sel:WORD_1 src1_sel:DWORD
	s_waitcnt lgkmcnt(2)
	v_pk_fma_f16 v2, v2, v50, v8
	v_pk_fma_f16 v3, v3, v50, v22
	;; [unrolled: 1-line block ×4, first 2 shown]
	ds_read2_b64 v[2:5], v47 offset0:128 offset1:160
	v_mul_u32_u24_sdwa v50, v53, s25 dst_sel:DWORD dst_unused:UNUSED_PAD src0_sel:WORD_0 src1_sel:DWORD
	v_mul_u32_u24_sdwa v51, v53, s25 dst_sel:DWORD dst_unused:UNUSED_PAD src0_sel:WORD_1 src1_sel:DWORD
	s_waitcnt lgkmcnt(1)
	v_pk_fma_f16 v8, v56, v50, v8
	v_pk_fma_f16 v22, v57, v50, v22
	;; [unrolled: 1-line block ×4, first 2 shown]
	ds_read2_b64 v[50:53], v47 offset0:192 offset1:224
	v_mul_u32_u24_sdwa v56, v54, s25 dst_sel:DWORD dst_unused:UNUSED_PAD src0_sel:WORD_0 src1_sel:DWORD
	v_mul_u32_u24_sdwa v54, v54, s25 dst_sel:DWORD dst_unused:UNUSED_PAD src0_sel:WORD_1 src1_sel:DWORD
	s_waitcnt lgkmcnt(1)
	v_pk_fma_f16 v2, v2, v56, v8
	v_pk_fma_f16 v3, v3, v56, v22
	;; [unrolled: 1-line block ×4, first 2 shown]
	v_mul_u32_u24_sdwa v58, v55, s25 dst_sel:DWORD dst_unused:UNUSED_PAD src0_sel:WORD_0 src1_sel:DWORD
	v_mul_u32_u24_sdwa v59, v55, s25 dst_sel:DWORD dst_unused:UNUSED_PAD src0_sel:WORD_1 src1_sel:DWORD
	ds_read2_b64 v[54:57], v48 offset1:32
	s_waitcnt lgkmcnt(1)
	v_pk_fma_f16 v8, v50, v58, v8
	v_pk_fma_f16 v22, v51, v58, v22
	;; [unrolled: 1-line block ×4, first 2 shown]
	ds_read2_b64 v[50:53], v48 offset0:64 offset1:96
	v_mul_u32_u24_sdwa v58, v18, s25 dst_sel:DWORD dst_unused:UNUSED_PAD src0_sel:WORD_0 src1_sel:DWORD
	v_mul_u32_u24_sdwa v18, v18, s25 dst_sel:DWORD dst_unused:UNUSED_PAD src0_sel:WORD_1 src1_sel:DWORD
	s_waitcnt lgkmcnt(1)
	v_pk_fma_f16 v8, v54, v58, v8
	v_pk_fma_f16 v22, v55, v58, v22
	;; [unrolled: 1-line block ×4, first 2 shown]
	ds_read2_b64 v[54:57], v48 offset0:128 offset1:160
	v_mul_u32_u24_sdwa v22, v19, s25 dst_sel:DWORD dst_unused:UNUSED_PAD src0_sel:WORD_0 src1_sel:DWORD
	v_mul_u32_u24_sdwa v19, v19, s25 dst_sel:DWORD dst_unused:UNUSED_PAD src0_sel:WORD_1 src1_sel:DWORD
	s_waitcnt lgkmcnt(1)
	v_pk_fma_f16 v8, v50, v22, v8
	v_pk_fma_f16 v18, v51, v22, v18
	v_pk_fma_f16 v8, v52, v19, v8
	v_pk_fma_f16 v18, v53, v19, v18
	ds_read2_b64 v[50:53], v48 offset0:192 offset1:224
	v_mul_u32_u24_sdwa v19, v20, s25 dst_sel:DWORD dst_unused:UNUSED_PAD src0_sel:WORD_0 src1_sel:DWORD
	ds_read_b128 v[2:5], v39 offset:48
	v_mul_u32_u24_sdwa v20, v20, s25 dst_sel:DWORD dst_unused:UNUSED_PAD src0_sel:WORD_1 src1_sel:DWORD
	s_waitcnt lgkmcnt(2)
	v_pk_fma_f16 v8, v54, v19, v8
	v_pk_fma_f16 v18, v55, v19, v18
	;; [unrolled: 1-line block ×4, first 2 shown]
	ds_read2_b64 v[54:57], v49 offset1:32
	v_mul_u32_u24_sdwa v58, v21, s25 dst_sel:DWORD dst_unused:UNUSED_PAD src0_sel:WORD_0 src1_sel:DWORD
	v_mul_u32_u24_sdwa v59, v21, s25 dst_sel:DWORD dst_unused:UNUSED_PAD src0_sel:WORD_1 src1_sel:DWORD
	ds_read2_b64 v[18:21], v49 offset0:64 offset1:96
	s_waitcnt lgkmcnt(3)
	v_pk_fma_f16 v8, v50, v58, v8
	v_pk_fma_f16 v22, v51, v58, v22
	v_pk_fma_f16 v8, v52, v59, v8
	v_pk_fma_f16 v22, v53, v59, v22
	s_waitcnt lgkmcnt(2)
	v_mul_u32_u24_sdwa v58, v2, s25 dst_sel:DWORD dst_unused:UNUSED_PAD src0_sel:WORD_0 src1_sel:DWORD
	v_mul_u32_u24_sdwa v2, v2, s25 dst_sel:DWORD dst_unused:UNUSED_PAD src0_sel:WORD_1 src1_sel:DWORD
	s_waitcnt lgkmcnt(1)
	v_pk_fma_f16 v8, v54, v58, v8
	v_pk_fma_f16 v22, v55, v58, v22
	;; [unrolled: 1-line block ×4, first 2 shown]
	v_mul_u32_u24_sdwa v22, v3, s25 dst_sel:DWORD dst_unused:UNUSED_PAD src0_sel:WORD_0 src1_sel:DWORD
	v_mul_u32_u24_sdwa v3, v3, s25 dst_sel:DWORD dst_unused:UNUSED_PAD src0_sel:WORD_1 src1_sel:DWORD
	s_waitcnt lgkmcnt(0)
	v_pk_fma_f16 v8, v18, v22, v8
	v_pk_fma_f16 v2, v19, v22, v2
	ds_read2_b64 v[50:53], v49 offset0:128 offset1:160
	ds_read2_b64 v[54:57], v49 offset0:192 offset1:224
	s_waitcnt lgkmcnt(0)
	s_barrier
	v_pk_fma_f16 v8, v20, v3, v8
	v_pk_fma_f16 v22, v21, v3, v2
	global_load_dwordx4 v[18:21], v[63:64], off
	v_mul_u32_u24_sdwa v58, v4, s25 dst_sel:DWORD dst_unused:UNUSED_PAD src0_sel:WORD_0 src1_sel:DWORD
	v_mul_u32_u24_sdwa v59, v4, s25 dst_sel:DWORD dst_unused:UNUSED_PAD src0_sel:WORD_1 src1_sel:DWORD
	v_mul_u32_u24_sdwa v60, v5, s25 dst_sel:DWORD dst_unused:UNUSED_PAD src0_sel:WORD_0 src1_sel:DWORD
	v_mul_u32_u24_sdwa v61, v5, s25 dst_sel:DWORD dst_unused:UNUSED_PAD src0_sel:WORD_1 src1_sel:DWORD
	global_load_dwordx4 v[2:5], v[6:7], off
	v_pk_fma_f16 v6, v50, v58, v8
	v_pk_fma_f16 v7, v51, v58, v22
	;; [unrolled: 1-line block ×8, first 2 shown]
	s_waitcnt vmcnt(1)
	ds_write_b128 v41, v[18:21]
	s_waitcnt vmcnt(0)
	ds_write_b128 v42, v[2:5]
	s_waitcnt lgkmcnt(0)
	s_barrier
	ds_read_b128 v[2:5], v39 offset:64
	ds_read2_b64 v[18:21], v27 offset1:32
	ds_read_b128 v[50:53], v39 offset:80
	ds_read_b128 v[54:57], v39 offset:96
	ds_read2_b64 v[58:61], v27 offset0:64 offset1:96
	s_waitcnt lgkmcnt(4)
	v_mul_u32_u24_sdwa v8, v2, s25 dst_sel:DWORD dst_unused:UNUSED_PAD src0_sel:WORD_0 src1_sel:DWORD
	v_mul_u32_u24_sdwa v2, v2, s25 dst_sel:DWORD dst_unused:UNUSED_PAD src0_sel:WORD_1 src1_sel:DWORD
	s_waitcnt lgkmcnt(3)
	v_pk_fma_f16 v6, v18, v8, v6
	v_pk_fma_f16 v7, v19, v8, v7
	;; [unrolled: 1-line block ×4, first 2 shown]
	ds_read2_b64 v[18:21], v27 offset0:128 offset1:160
	v_mul_u32_u24_sdwa v7, v3, s25 dst_sel:DWORD dst_unused:UNUSED_PAD src0_sel:WORD_0 src1_sel:DWORD
	v_mul_u32_u24_sdwa v3, v3, s25 dst_sel:DWORD dst_unused:UNUSED_PAD src0_sel:WORD_1 src1_sel:DWORD
	s_waitcnt lgkmcnt(1)
	v_pk_fma_f16 v6, v58, v7, v6
	v_pk_fma_f16 v2, v59, v7, v2
	;; [unrolled: 1-line block ×4, first 2 shown]
	ds_read2_b64 v[58:61], v27 offset0:192 offset1:224
	v_mul_u32_u24_sdwa v3, v4, s25 dst_sel:DWORD dst_unused:UNUSED_PAD src0_sel:WORD_0 src1_sel:DWORD
	v_mul_u32_u24_sdwa v4, v4, s25 dst_sel:DWORD dst_unused:UNUSED_PAD src0_sel:WORD_1 src1_sel:DWORD
	s_waitcnt lgkmcnt(1)
	v_pk_fma_f16 v6, v18, v3, v6
	v_pk_fma_f16 v2, v19, v3, v2
	;; [unrolled: 1-line block ×4, first 2 shown]
	v_mul_u32_u24_sdwa v8, v5, s25 dst_sel:DWORD dst_unused:UNUSED_PAD src0_sel:WORD_0 src1_sel:DWORD
	v_mul_u32_u24_sdwa v22, v5, s25 dst_sel:DWORD dst_unused:UNUSED_PAD src0_sel:WORD_1 src1_sel:DWORD
	ds_read2_b64 v[2:5], v47 offset1:32
	s_waitcnt lgkmcnt(1)
	v_pk_fma_f16 v6, v58, v8, v6
	v_pk_fma_f16 v7, v59, v8, v7
	v_pk_fma_f16 v6, v60, v22, v6
	v_pk_fma_f16 v7, v61, v22, v7
	ds_read2_b64 v[58:61], v47 offset0:64 offset1:96
	v_mul_u32_u24_sdwa v8, v50, s25 dst_sel:DWORD dst_unused:UNUSED_PAD src0_sel:WORD_0 src1_sel:DWORD
	v_mul_u32_u24_sdwa v22, v50, s25 dst_sel:DWORD dst_unused:UNUSED_PAD src0_sel:WORD_1 src1_sel:DWORD
	s_waitcnt lgkmcnt(1)
	v_pk_fma_f16 v2, v2, v8, v6
	v_pk_fma_f16 v3, v3, v8, v7
	v_pk_fma_f16 v6, v4, v22, v2
	v_pk_fma_f16 v7, v5, v22, v3
	ds_read2_b64 v[2:5], v47 offset0:128 offset1:160
	v_mul_u32_u24_sdwa v8, v51, s25 dst_sel:DWORD dst_unused:UNUSED_PAD src0_sel:WORD_0 src1_sel:DWORD
	v_mul_u32_u24_sdwa v22, v51, s25 dst_sel:DWORD dst_unused:UNUSED_PAD src0_sel:WORD_1 src1_sel:DWORD
	;; [unrolled: 8-line block ×3, first 2 shown]
	s_waitcnt lgkmcnt(1)
	v_pk_fma_f16 v2, v2, v8, v6
	v_pk_fma_f16 v3, v3, v8, v7
	;; [unrolled: 1-line block ×4, first 2 shown]
	ds_read2_b64 v[2:5], v48 offset1:32
	v_mul_u32_u24_sdwa v8, v53, s25 dst_sel:DWORD dst_unused:UNUSED_PAD src0_sel:WORD_0 src1_sel:DWORD
	v_mul_u32_u24_sdwa v22, v53, s25 dst_sel:DWORD dst_unused:UNUSED_PAD src0_sel:WORD_1 src1_sel:DWORD
	ds_read2_b64 v[50:53], v48 offset0:64 offset1:96
	s_waitcnt lgkmcnt(2)
	v_pk_fma_f16 v6, v58, v8, v6
	v_pk_fma_f16 v7, v59, v8, v7
	;; [unrolled: 1-line block ×4, first 2 shown]
	ds_read2_b64 v[58:61], v48 offset0:128 offset1:160
	v_mul_u32_u24_sdwa v8, v54, s25 dst_sel:DWORD dst_unused:UNUSED_PAD src0_sel:WORD_0 src1_sel:DWORD
	v_mul_u32_u24_sdwa v22, v54, s25 dst_sel:DWORD dst_unused:UNUSED_PAD src0_sel:WORD_1 src1_sel:DWORD
	s_waitcnt lgkmcnt(2)
	v_pk_fma_f16 v2, v2, v8, v6
	v_pk_fma_f16 v3, v3, v8, v7
	;; [unrolled: 1-line block ×4, first 2 shown]
	ds_read2_b64 v[2:5], v48 offset0:192 offset1:224
	v_mul_u32_u24_sdwa v8, v55, s25 dst_sel:DWORD dst_unused:UNUSED_PAD src0_sel:WORD_0 src1_sel:DWORD
	ds_read_b128 v[18:21], v39 offset:112
	v_mul_u32_u24_sdwa v22, v55, s25 dst_sel:DWORD dst_unused:UNUSED_PAD src0_sel:WORD_1 src1_sel:DWORD
	s_waitcnt lgkmcnt(3)
	v_pk_fma_f16 v6, v50, v8, v6
	v_pk_fma_f16 v7, v51, v8, v7
	;; [unrolled: 1-line block ×4, first 2 shown]
	ds_read2_b64 v[50:53], v49 offset1:32
	v_mul_u32_u24_sdwa v8, v56, s25 dst_sel:DWORD dst_unused:UNUSED_PAD src0_sel:WORD_0 src1_sel:DWORD
	v_mul_u32_u24_sdwa v22, v56, s25 dst_sel:DWORD dst_unused:UNUSED_PAD src0_sel:WORD_1 src1_sel:DWORD
	s_waitcnt lgkmcnt(3)
	v_pk_fma_f16 v6, v58, v8, v6
	v_pk_fma_f16 v7, v59, v8, v7
	;; [unrolled: 1-line block ×4, first 2 shown]
	ds_read2_b64 v[58:61], v49 offset0:64 offset1:96
	v_mul_u32_u24_sdwa v8, v57, s25 dst_sel:DWORD dst_unused:UNUSED_PAD src0_sel:WORD_0 src1_sel:DWORD
	v_mul_u32_u24_sdwa v22, v57, s25 dst_sel:DWORD dst_unused:UNUSED_PAD src0_sel:WORD_1 src1_sel:DWORD
	s_waitcnt lgkmcnt(3)
	v_pk_fma_f16 v2, v2, v8, v6
	v_pk_fma_f16 v3, v3, v8, v7
	ds_read2_b64 v[54:57], v49 offset0:128 offset1:160
	v_pk_fma_f16 v6, v4, v22, v2
	v_pk_fma_f16 v7, v5, v22, v3
	s_waitcnt lgkmcnt(3)
	v_mul_u32_u24_sdwa v8, v18, s25 dst_sel:DWORD dst_unused:UNUSED_PAD src0_sel:WORD_0 src1_sel:DWORD
	ds_read2_b64 v[2:5], v49 offset0:192 offset1:224
	s_waitcnt lgkmcnt(0)
	s_barrier
	s_load_dword s0, s[8:9], 0x4
	v_mul_u32_u24_sdwa v18, v18, s25 dst_sel:DWORD dst_unused:UNUSED_PAD src0_sel:WORD_1 src1_sel:DWORD
	v_pk_fma_f16 v6, v50, v8, v6
	v_pk_fma_f16 v7, v51, v8, v7
	v_mul_u32_u24_sdwa v8, v19, s25 dst_sel:DWORD dst_unused:UNUSED_PAD src0_sel:WORD_0 src1_sel:DWORD
	v_pk_fma_f16 v6, v52, v18, v6
	v_pk_fma_f16 v7, v53, v18, v7
	v_mul_u32_u24_sdwa v18, v19, s25 dst_sel:DWORD dst_unused:UNUSED_PAD src0_sel:WORD_1 src1_sel:DWORD
	v_pk_fma_f16 v6, v58, v8, v6
	v_pk_fma_f16 v7, v59, v8, v7
	v_mul_u32_u24_sdwa v19, v20, s25 dst_sel:DWORD dst_unused:UNUSED_PAD src0_sel:WORD_0 src1_sel:DWORD
	v_pk_fma_f16 v6, v60, v18, v6
	v_pk_fma_f16 v7, v61, v18, v7
	v_mul_u32_u24_sdwa v20, v20, s25 dst_sel:DWORD dst_unused:UNUSED_PAD src0_sel:WORD_1 src1_sel:DWORD
	v_pk_fma_f16 v6, v54, v19, v6
	v_pk_fma_f16 v7, v55, v19, v7
	v_mul_u32_u24_sdwa v22, v21, s25 dst_sel:DWORD dst_unused:UNUSED_PAD src0_sel:WORD_0 src1_sel:DWORD
	s_waitcnt lgkmcnt(0)
	s_lshl_b32 s0, s0, 6
	v_pk_fma_f16 v6, v56, v20, v6
	v_pk_fma_f16 v7, v57, v20, v7
	v_mul_u32_u24_sdwa v21, v21, s25 dst_sel:DWORD dst_unused:UNUSED_PAD src0_sel:WORD_1 src1_sel:DWORD
	s_add_i32 s6, s0, s6
	v_pk_fma_f16 v2, v2, v22, v6
	v_pk_fma_f16 v3, v3, v22, v7
	s_cmp_ge_i32 s6, s28
	v_pk_fma_f16 v50, v4, v21, v2
	v_pk_fma_f16 v51, v5, v21, v3
	s_cbranch_scc0 .LBB16_11
.LBB16_12:
	v_cmp_lt_i32_e32 vcc, v35, v30
	v_cndmask_b32_e32 v2, v29, v35, vcc
	v_lshlrev_b32_e32 v2, 2, v2
	ds_bpermute_b32 v2, v2, v23
	v_cmp_lt_i32_e32 vcc, v34, v30
	v_cndmask_b32_e32 v3, v29, v34, vcc
	v_lshlrev_b32_e32 v3, 2, v3
	v_cmp_lt_i32_e32 vcc, v33, v30
	s_waitcnt lgkmcnt(0)
	v_add_f32_e32 v2, v23, v2
	ds_bpermute_b32 v3, v3, v2
	v_cndmask_b32_e32 v4, v29, v33, vcc
	v_lshlrev_b32_e32 v4, 2, v4
	v_cmp_lt_i32_e32 vcc, v31, v30
	s_cmp_lg_u64 s[16:17], 0
	s_waitcnt lgkmcnt(0)
	v_add_f32_e32 v2, v2, v3
	ds_bpermute_b32 v3, v4, v2
	v_cndmask_b32_e32 v4, v29, v31, vcc
	v_lshlrev_b32_e32 v4, 2, v4
	v_cmp_lt_i32_e32 vcc, v32, v30
	v_cndmask_b32_e32 v5, v29, v32, vcc
	s_waitcnt lgkmcnt(0)
	v_add_f32_e32 v2, v2, v3
	ds_bpermute_b32 v4, v4, v2
	v_lshlrev_b32_e32 v5, 2, v5
	s_cselect_b64 s[0:1], -1, 0
	s_cmp_eq_u32 s7, 0
	s_cselect_b64 s[2:3], -1, 0
	s_waitcnt lgkmcnt(0)
	v_add_f32_e32 v2, v2, v4
	ds_bpermute_b32 v4, v5, v2
	s_and_b64 s[0:1], s[2:3], s[0:1]
	v_add_u32_e32 v3, s29, v25
	s_and_b64 vcc, exec, s[0:1]
	s_waitcnt lgkmcnt(0)
	v_add_f32_e32 v2, v2, v4
	s_cbranch_vccz .LBB16_14
; %bb.13:
	v_ashrrev_i32_e32 v4, 31, v3
	v_lshlrev_b64 v[4:5], 2, v[3:4]
	v_mov_b32_e32 v6, s17
	v_add_co_u32_e32 v4, vcc, s16, v4
	v_addc_co_u32_e32 v5, vcc, v6, v5, vcc
	global_load_dword v4, v[4:5], off
	v_max_f32_e32 v5, v1, v1
	s_mov_b32 s0, 0x3fb8aa3b
	s_mov_b32 s1, 0xc2ce8ed0
	s_waitcnt vmcnt(0)
	v_max_f32_e32 v6, v4, v4
	v_max_f32_e32 v5, v5, v6
	v_sub_f32_e32 v1, v1, v5
	v_sub_f32_e32 v4, v4, v5
	v_mul_f32_e32 v6, 0x3fb8aa3b, v1
	v_mul_f32_e32 v7, 0x3fb8aa3b, v4
	v_fma_f32 v8, v1, s0, -v6
	v_rndne_f32_e32 v9, v6
	v_fma_f32 v10, v4, s0, -v7
	v_rndne_f32_e32 v11, v7
	v_fmac_f32_e32 v8, 0x32a5705f, v1
	v_sub_f32_e32 v6, v6, v9
	v_fmac_f32_e32 v10, 0x32a5705f, v4
	v_sub_f32_e32 v7, v7, v11
	v_add_f32_e32 v6, v6, v8
	v_cvt_i32_f32_e32 v9, v9
	v_add_f32_e32 v7, v7, v10
	v_exp_f32_e32 v6, v6
	v_cvt_i32_f32_e32 v11, v11
	v_exp_f32_e32 v7, v7
	v_cmp_ngt_f32_e32 vcc, s1, v1
	v_ldexp_f32 v6, v6, v9
	s_mov_b32 s0, 0x42b17218
	v_ldexp_f32 v7, v7, v11
	v_cndmask_b32_e32 v6, 0, v6, vcc
	v_cmp_ngt_f32_e32 vcc, s1, v4
	v_mov_b32_e32 v8, 0x7f800000
	v_cndmask_b32_e32 v7, 0, v7, vcc
	v_cmp_nlt_f32_e32 vcc, s0, v1
	v_cndmask_b32_e32 v1, v8, v6, vcc
	v_cvt_f16_f32_e32 v6, v1
	v_cmp_nlt_f32_e32 vcc, s0, v4
	v_cndmask_b32_e32 v4, v8, v7, vcc
	v_fmac_f32_e32 v4, v2, v1
	v_mul_u32_u24_e32 v1, 0x10001, v6
	v_mov_b32_e32 v2, v4
	v_pk_mul_f16 v50, v50, v1
	v_pk_mul_f16 v51, v51, v1
	v_mov_b32_e32 v1, v5
.LBB16_14:
	v_div_scale_f32 v4, s[0:1], v2, v2, 1.0
	v_div_scale_f32 v6, vcc, 1.0, v2, 1.0
	s_mul_i32 s33, s33, s26
	s_load_dword s4, s[4:5], 0xd4
	v_cmp_eq_u32_e64 s[0:1], 0, v0
	v_add_u32_e32 v0, s33, v24
	v_mov_b32_e32 v5, 0
	v_cvt_f32_f16_e32 v10, v51
	v_cvt_f32_f16_sdwa v11, v51 dst_sel:DWORD dst_unused:UNUSED_PAD src0_sel:WORD_1
	s_waitcnt lgkmcnt(0)
	s_cmp_lg_u32 s4, 1
	v_rcp_f32_e32 v7, v4
	v_fma_f32 v8, -v4, v7, 1.0
	v_fmac_f32_e32 v7, v8, v7
	v_mul_f32_e32 v8, v6, v7
	v_fma_f32 v9, -v4, v8, v6
	v_fmac_f32_e32 v8, v9, v7
	v_fma_f32 v4, -v4, v8, v6
	v_div_fmas_f32 v6, v4, v7, v8
	v_mad_u64_u32 v[3:4], s[2:3], v0, s27, v[3:4]
	v_cvt_f32_f16_e32 v0, v50
	v_cvt_f32_f16_sdwa v7, v50 dst_sel:DWORD dst_unused:UNUSED_PAD src0_sel:WORD_1
	v_mul_lo_u32 v3, s4, v3
	s_cselect_b64 s[2:3], -1, 0
	v_mov_b32_e32 v9, s21
	s_and_b64 s[0:1], s[0:1], s[2:3]
	v_add_u32_e32 v3, s7, v3
	v_lshl_add_u32 v4, v3, 7, v26
	v_lshlrev_b64 v[4:5], 2, v[4:5]
	v_add_co_u32_e32 v8, vcc, s20, v4
	v_addc_co_u32_e32 v9, vcc, v9, v5, vcc
	v_div_fixup_f32 v4, v6, v2, 1.0
	v_cndmask_b32_e64 v12, v4, 1.0, s[2:3]
	v_mul_f32_e32 v4, v12, v0
	v_mul_f32_e32 v5, v12, v7
	;; [unrolled: 1-line block ×4, first 2 shown]
	global_store_dwordx4 v[8:9], v[4:7], off
	s_and_saveexec_b64 s[2:3], s[0:1]
	s_cbranch_execz .LBB16_16
; %bb.15:
	v_ashrrev_i32_e32 v4, 31, v3
	v_lshlrev_b64 v[3:4], 3, v[3:4]
	v_mov_b32_e32 v0, s23
	v_add_co_u32_e32 v3, vcc, s22, v3
	v_addc_co_u32_e32 v4, vcc, v0, v4, vcc
	global_store_dwordx2 v[3:4], v[1:2], off
.LBB16_16:
	s_endpgm
	.section	.rodata,"a",@progbits
	.p2align	6, 0x0
	.amdhsa_kernel _ZL15flash_attn_tileILi192ELi128ELi1ELi8ELb0EEvPKcS1_S1_S1_S1_PKiPfP15HIP_vector_typeIfLj2EEffffjfiS5_IjLj3EEiiiiiiiiiiiliiliiiiil
		.amdhsa_group_segment_fixed_size 13312
		.amdhsa_private_segment_fixed_size 0
		.amdhsa_kernarg_size 464
		.amdhsa_user_sgpr_count 6
		.amdhsa_user_sgpr_private_segment_buffer 1
		.amdhsa_user_sgpr_dispatch_ptr 0
		.amdhsa_user_sgpr_queue_ptr 0
		.amdhsa_user_sgpr_kernarg_segment_ptr 1
		.amdhsa_user_sgpr_dispatch_id 0
		.amdhsa_user_sgpr_flat_scratch_init 0
		.amdhsa_user_sgpr_private_segment_size 0
		.amdhsa_uses_dynamic_stack 0
		.amdhsa_system_sgpr_private_segment_wavefront_offset 0
		.amdhsa_system_sgpr_workgroup_id_x 1
		.amdhsa_system_sgpr_workgroup_id_y 1
		.amdhsa_system_sgpr_workgroup_id_z 1
		.amdhsa_system_sgpr_workgroup_info 0
		.amdhsa_system_vgpr_workitem_id 1
		.amdhsa_next_free_vgpr 66
		.amdhsa_next_free_sgpr 98
		.amdhsa_reserve_vcc 1
		.amdhsa_reserve_flat_scratch 0
		.amdhsa_float_round_mode_32 0
		.amdhsa_float_round_mode_16_64 0
		.amdhsa_float_denorm_mode_32 3
		.amdhsa_float_denorm_mode_16_64 3
		.amdhsa_dx10_clamp 1
		.amdhsa_ieee_mode 1
		.amdhsa_fp16_overflow 0
		.amdhsa_exception_fp_ieee_invalid_op 0
		.amdhsa_exception_fp_denorm_src 0
		.amdhsa_exception_fp_ieee_div_zero 0
		.amdhsa_exception_fp_ieee_overflow 0
		.amdhsa_exception_fp_ieee_underflow 0
		.amdhsa_exception_fp_ieee_inexact 0
		.amdhsa_exception_int_div_zero 0
	.end_amdhsa_kernel
	.section	.text._ZL15flash_attn_tileILi192ELi128ELi1ELi8ELb0EEvPKcS1_S1_S1_S1_PKiPfP15HIP_vector_typeIfLj2EEffffjfiS5_IjLj3EEiiiiiiiiiiiliiliiiiil,"axG",@progbits,_ZL15flash_attn_tileILi192ELi128ELi1ELi8ELb0EEvPKcS1_S1_S1_S1_PKiPfP15HIP_vector_typeIfLj2EEffffjfiS5_IjLj3EEiiiiiiiiiiiliiliiiiil,comdat
.Lfunc_end16:
	.size	_ZL15flash_attn_tileILi192ELi128ELi1ELi8ELb0EEvPKcS1_S1_S1_S1_PKiPfP15HIP_vector_typeIfLj2EEffffjfiS5_IjLj3EEiiiiiiiiiiiliiliiiiil, .Lfunc_end16-_ZL15flash_attn_tileILi192ELi128ELi1ELi8ELb0EEvPKcS1_S1_S1_S1_PKiPfP15HIP_vector_typeIfLj2EEffffjfiS5_IjLj3EEiiiiiiiiiiiliiliiiiil
                                        ; -- End function
	.set _ZL15flash_attn_tileILi192ELi128ELi1ELi8ELb0EEvPKcS1_S1_S1_S1_PKiPfP15HIP_vector_typeIfLj2EEffffjfiS5_IjLj3EEiiiiiiiiiiiliiliiiiil.num_vgpr, 66
	.set _ZL15flash_attn_tileILi192ELi128ELi1ELi8ELb0EEvPKcS1_S1_S1_S1_PKiPfP15HIP_vector_typeIfLj2EEffffjfiS5_IjLj3EEiiiiiiiiiiiliiliiiiil.num_agpr, 0
	.set _ZL15flash_attn_tileILi192ELi128ELi1ELi8ELb0EEvPKcS1_S1_S1_S1_PKiPfP15HIP_vector_typeIfLj2EEffffjfiS5_IjLj3EEiiiiiiiiiiiliiliiiiil.numbered_sgpr, 39
	.set _ZL15flash_attn_tileILi192ELi128ELi1ELi8ELb0EEvPKcS1_S1_S1_S1_PKiPfP15HIP_vector_typeIfLj2EEffffjfiS5_IjLj3EEiiiiiiiiiiiliiliiiiil.num_named_barrier, 0
	.set _ZL15flash_attn_tileILi192ELi128ELi1ELi8ELb0EEvPKcS1_S1_S1_S1_PKiPfP15HIP_vector_typeIfLj2EEffffjfiS5_IjLj3EEiiiiiiiiiiiliiliiiiil.private_seg_size, 0
	.set _ZL15flash_attn_tileILi192ELi128ELi1ELi8ELb0EEvPKcS1_S1_S1_S1_PKiPfP15HIP_vector_typeIfLj2EEffffjfiS5_IjLj3EEiiiiiiiiiiiliiliiiiil.uses_vcc, 1
	.set _ZL15flash_attn_tileILi192ELi128ELi1ELi8ELb0EEvPKcS1_S1_S1_S1_PKiPfP15HIP_vector_typeIfLj2EEffffjfiS5_IjLj3EEiiiiiiiiiiiliiliiiiil.uses_flat_scratch, 0
	.set _ZL15flash_attn_tileILi192ELi128ELi1ELi8ELb0EEvPKcS1_S1_S1_S1_PKiPfP15HIP_vector_typeIfLj2EEffffjfiS5_IjLj3EEiiiiiiiiiiiliiliiiiil.has_dyn_sized_stack, 0
	.set _ZL15flash_attn_tileILi192ELi128ELi1ELi8ELb0EEvPKcS1_S1_S1_S1_PKiPfP15HIP_vector_typeIfLj2EEffffjfiS5_IjLj3EEiiiiiiiiiiiliiliiiiil.has_recursion, 0
	.set _ZL15flash_attn_tileILi192ELi128ELi1ELi8ELb0EEvPKcS1_S1_S1_S1_PKiPfP15HIP_vector_typeIfLj2EEffffjfiS5_IjLj3EEiiiiiiiiiiiliiliiiiil.has_indirect_call, 0
	.section	.AMDGPU.csdata,"",@progbits
; Kernel info:
; codeLenInByte = 7728
; TotalNumSgprs: 43
; NumVgprs: 66
; ScratchSize: 0
; MemoryBound: 0
; FloatMode: 240
; IeeeMode: 1
; LDSByteSize: 13312 bytes/workgroup (compile time only)
; SGPRBlocks: 12
; VGPRBlocks: 16
; NumSGPRsForWavesPerEU: 102
; NumVGPRsForWavesPerEU: 66
; Occupancy: 3
; WaveLimiterHint : 1
; COMPUTE_PGM_RSRC2:SCRATCH_EN: 0
; COMPUTE_PGM_RSRC2:USER_SGPR: 6
; COMPUTE_PGM_RSRC2:TRAP_HANDLER: 0
; COMPUTE_PGM_RSRC2:TGID_X_EN: 1
; COMPUTE_PGM_RSRC2:TGID_Y_EN: 1
; COMPUTE_PGM_RSRC2:TGID_Z_EN: 1
; COMPUTE_PGM_RSRC2:TIDIG_COMP_CNT: 1
	.section	.text._ZL33flash_attn_stream_k_fixup_uniformILi128ELi1ELi8EEvPfPK15HIP_vector_typeIfLj2EEiiiiiiS1_IjLj3EES5_S5_,"axG",@progbits,_ZL33flash_attn_stream_k_fixup_uniformILi128ELi1ELi8EEvPfPK15HIP_vector_typeIfLj2EEiiiiiiS1_IjLj3EES5_S5_,comdat
	.globl	_ZL33flash_attn_stream_k_fixup_uniformILi128ELi1ELi8EEvPfPK15HIP_vector_typeIfLj2EEiiiiiiS1_IjLj3EES5_S5_ ; -- Begin function _ZL33flash_attn_stream_k_fixup_uniformILi128ELi1ELi8EEvPfPK15HIP_vector_typeIfLj2EEiiiiiiS1_IjLj3EES5_S5_
	.p2align	8
	.type	_ZL33flash_attn_stream_k_fixup_uniformILi128ELi1ELi8EEvPfPK15HIP_vector_typeIfLj2EEiiiiiiS1_IjLj3EES5_S5_,@function
_ZL33flash_attn_stream_k_fixup_uniformILi128ELi1ELi8EEvPfPK15HIP_vector_typeIfLj2EEiiiiiiS1_IjLj3EES5_S5_: ; @_ZL33flash_attn_stream_k_fixup_uniformILi128ELi1ELi8EEvPfPK15HIP_vector_typeIfLj2EEiiiiiiS1_IjLj3EES5_S5_
; %bb.0:
	s_load_dwordx8 s[12:19], s[4:5], 0x1c
	s_load_dwordx2 s[10:11], s[4:5], 0x10
	s_load_dwordx4 s[0:3], s[4:5], 0x3c
	s_waitcnt lgkmcnt(0)
	s_mul_hi_u32 s9, s15, s6
	s_add_i32 s9, s6, s9
	s_lshr_b32 s9, s9, s16
	s_mul_i32 s15, s9, s17
	s_sub_i32 s16, s6, s15
	s_mul_hi_u32 s15, s16, s18
	s_add_i32 s15, s16, s15
	s_lshr_b32 s15, s15, s19
	s_mul_i32 s0, s15, s0
	s_sub_i32 s0, s16, s0
	;; [unrolled: 5-line block ×3, first 2 shown]
	s_lshl_b32 s17, s1, 3
	s_add_i32 s16, s16, s7
	s_cmp_lt_i32 s16, s10
	s_cselect_b64 s[0:1], -1, 0
	s_add_i32 s17, s17, s8
	s_cmp_lt_i32 s17, s13
	s_cselect_b64 s[2:3], -1, 0
	s_and_b64 s[0:1], s[0:1], s[2:3]
	s_andn2_b64 vcc, exec, s[0:1]
	s_cbranch_vccnz .LBB17_6
; %bb.1:
	s_mul_i32 s9, s9, s10
	s_load_dwordx4 s[0:3], s[4:5], 0x0
	s_mul_i32 s15, s15, s13
	s_add_i32 s4, s16, s9
	s_mul_i32 s4, s4, s11
	s_add_i32 s5, s17, s15
	s_add_i32 s5, s5, s4
	v_lshl_or_b32 v1, s5, 7, v0
	v_ashrrev_i32_e32 v2, 31, v1
	v_lshlrev_b64 v[1:2], 2, v[1:2]
	s_waitcnt lgkmcnt(0)
	v_mov_b32_e32 v3, s1
	v_add_co_u32_e32 v1, vcc, s0, v1
	v_addc_co_u32_e32 v2, vcc, v3, v2, vcc
	global_load_dword v8, v[1:2], off
	s_mul_i32 s9, s14, s6
	s_add_i32 s4, s9, s14
	s_add_i32 s0, s7, s4
	s_lshl_b32 s0, s0, 3
	s_add_i32 s0, s0, s8
	s_add_i32 s0, s0, -8
	s_ashr_i32 s1, s0, 31
	s_lshl_b64 s[0:1], s[0:1], 3
	s_add_u32 s0, s2, s0
	s_addc_u32 s1, s3, s1
	s_load_dword s5, s[0:1], 0x4
	s_add_i32 s10, s4, -2
	s_cmp_lt_i32 s10, s9
	s_cbranch_scc1 .LBB17_4
; %bb.2:
	s_lshl_b32 s10, s12, 5
	s_ashr_i32 s11, s10, 31
	s_lshl_b64 s[10:11], s[10:11], 2
	s_add_u32 s10, s2, s10
	s_addc_u32 s13, s3, s11
	s_load_dword s0, s[0:1], 0x0
	s_add_i32 s6, s6, 1
	s_lshl_b32 s1, s8, 7
	s_add_i32 s12, s7, s12
	s_mul_i32 s6, s14, s6
	s_lshl_b32 s7, s7, 10
	s_add_i32 s12, s12, s4
	s_lshl_b32 s6, s6, 10
	s_add_i32 s1, s1, s7
	s_add_i32 s11, s4, -1
	s_lshl_b32 s4, s12, 3
	s_add_i32 s1, s1, s6
	s_add_i32 s4, s8, s4
	v_or_b32_e32 v0, s1, v0
	s_add_i32 s4, s4, -16
	v_add_u32_e32 v3, 0xfffff800, v0
	s_waitcnt lgkmcnt(0)
	v_mov_b32_e32 v7, s5
	v_mov_b32_e32 v6, s0
	;; [unrolled: 1-line block ×3, first 2 shown]
	s_mov_b32 s6, 0x3fb8aa3b
	s_mov_b32 s7, 0xc2ce8ed0
	;; [unrolled: 1-line block ×3, first 2 shown]
	v_mov_b32_e32 v5, 0x7f800000
	s_mov_b32 s12, 0xc1a00000
.LBB17_3:                               ; =>This Inner Loop Header: Depth=1
	v_ashrrev_i32_e32 v4, 31, v3
	v_lshlrev_b64 v[9:10], 2, v[3:4]
	s_ashr_i32 s5, s4, 31
	v_add_co_u32_e32 v9, vcc, s10, v9
	v_addc_co_u32_e32 v10, vcc, v0, v10, vcc
	global_load_dword v4, v[9:10], off
	s_lshl_b64 s[0:1], s[4:5], 3
	s_add_u32 s0, s2, s0
	s_addc_u32 s1, s3, s1
	s_load_dwordx2 s[14:15], s[0:1], 0x0
	s_waitcnt vmcnt(1)
	v_mov_b32_e32 v9, v8
	v_max_f32_e32 v8, v6, v6
	v_mov_b32_e32 v10, v7
	s_add_i32 s11, s11, -1
	s_waitcnt lgkmcnt(0)
	v_max_f32_e64 v7, s14, s14
	v_max_f32_e32 v7, v8, v7
	v_sub_f32_e32 v11, s14, v7
	v_sub_f32_e32 v8, v6, v7
	v_mul_f32_e32 v12, 0x3fb8aa3b, v11
	v_mov_b32_e32 v6, v7
	v_mul_f32_e32 v7, 0x3fb8aa3b, v8
	v_fma_f32 v15, v11, s6, -v12
	v_rndne_f32_e32 v16, v12
	v_fma_f32 v13, v8, s6, -v7
	v_rndne_f32_e32 v14, v7
	v_fmac_f32_e32 v15, 0x32a5705f, v11
	v_sub_f32_e32 v12, v12, v16
	v_fmac_f32_e32 v13, 0x32a5705f, v8
	v_sub_f32_e32 v7, v7, v14
	v_add_f32_e32 v12, v12, v15
	v_cvt_i32_f32_e32 v16, v16
	v_add_f32_e32 v7, v7, v13
	v_exp_f32_e32 v12, v12
	v_cvt_i32_f32_e32 v14, v14
	v_exp_f32_e32 v7, v7
	v_cmp_ngt_f32_e32 vcc, s7, v11
	v_ldexp_f32 v12, v12, v16
	v_cmp_ngt_f32_e64 s[0:1], s7, v8
	v_ldexp_f32 v7, v7, v14
	v_cndmask_b32_e32 v12, 0, v12, vcc
	v_cmp_nlt_f32_e32 vcc, s8, v11
	v_cndmask_b32_e64 v7, 0, v7, s[0:1]
	v_cmp_nlt_f32_e64 s[0:1], s8, v8
	v_cndmask_b32_e32 v12, v5, v12, vcc
	v_cmp_le_f32_e32 vcc, s12, v11
	v_cndmask_b32_e64 v7, v5, v7, s[0:1]
	v_cmp_le_f32_e64 s[0:1], s12, v8
	v_cndmask_b32_e32 v8, 0, v12, vcc
	s_add_i32 s4, s4, -8
	v_cndmask_b32_e64 v11, 0, v7, s[0:1]
	v_mul_f32_e32 v7, s15, v8
	v_add_u32_e32 v3, 0xfffffc00, v3
	s_cmp_le_i32 s11, s9
	v_fmac_f32_e32 v7, v10, v11
	s_waitcnt vmcnt(0)
	v_mul_f32_e32 v8, v4, v8
	v_fmac_f32_e32 v8, v9, v11
	s_cbranch_scc0 .LBB17_3
	s_branch .LBB17_5
.LBB17_4:
	s_waitcnt lgkmcnt(0)
	v_mov_b32_e32 v7, s5
.LBB17_5:
	s_waitcnt vmcnt(0)
	v_div_scale_f32 v0, s[0:1], v7, v7, v8
	v_div_scale_f32 v3, vcc, v8, v7, v8
	v_rcp_f32_e32 v4, v0
	v_fma_f32 v5, -v0, v4, 1.0
	v_fmac_f32_e32 v4, v5, v4
	v_mul_f32_e32 v5, v3, v4
	v_fma_f32 v6, -v0, v5, v3
	v_fmac_f32_e32 v5, v6, v4
	v_fma_f32 v0, -v0, v5, v3
	v_div_fmas_f32 v0, v0, v4, v5
	v_div_fixup_f32 v0, v0, v7, v8
	global_store_dword v[1:2], v0, off
.LBB17_6:
	s_endpgm
	.section	.rodata,"a",@progbits
	.p2align	6, 0x0
	.amdhsa_kernel _ZL33flash_attn_stream_k_fixup_uniformILi128ELi1ELi8EEvPfPK15HIP_vector_typeIfLj2EEiiiiiiS1_IjLj3EES5_S5_
		.amdhsa_group_segment_fixed_size 0
		.amdhsa_private_segment_fixed_size 0
		.amdhsa_kernarg_size 76
		.amdhsa_user_sgpr_count 6
		.amdhsa_user_sgpr_private_segment_buffer 1
		.amdhsa_user_sgpr_dispatch_ptr 0
		.amdhsa_user_sgpr_queue_ptr 0
		.amdhsa_user_sgpr_kernarg_segment_ptr 1
		.amdhsa_user_sgpr_dispatch_id 0
		.amdhsa_user_sgpr_flat_scratch_init 0
		.amdhsa_user_sgpr_private_segment_size 0
		.amdhsa_uses_dynamic_stack 0
		.amdhsa_system_sgpr_private_segment_wavefront_offset 0
		.amdhsa_system_sgpr_workgroup_id_x 1
		.amdhsa_system_sgpr_workgroup_id_y 1
		.amdhsa_system_sgpr_workgroup_id_z 1
		.amdhsa_system_sgpr_workgroup_info 0
		.amdhsa_system_vgpr_workitem_id 0
		.amdhsa_next_free_vgpr 17
		.amdhsa_next_free_sgpr 20
		.amdhsa_reserve_vcc 1
		.amdhsa_reserve_flat_scratch 0
		.amdhsa_float_round_mode_32 0
		.amdhsa_float_round_mode_16_64 0
		.amdhsa_float_denorm_mode_32 3
		.amdhsa_float_denorm_mode_16_64 3
		.amdhsa_dx10_clamp 1
		.amdhsa_ieee_mode 1
		.amdhsa_fp16_overflow 0
		.amdhsa_exception_fp_ieee_invalid_op 0
		.amdhsa_exception_fp_denorm_src 0
		.amdhsa_exception_fp_ieee_div_zero 0
		.amdhsa_exception_fp_ieee_overflow 0
		.amdhsa_exception_fp_ieee_underflow 0
		.amdhsa_exception_fp_ieee_inexact 0
		.amdhsa_exception_int_div_zero 0
	.end_amdhsa_kernel
	.section	.text._ZL33flash_attn_stream_k_fixup_uniformILi128ELi1ELi8EEvPfPK15HIP_vector_typeIfLj2EEiiiiiiS1_IjLj3EES5_S5_,"axG",@progbits,_ZL33flash_attn_stream_k_fixup_uniformILi128ELi1ELi8EEvPfPK15HIP_vector_typeIfLj2EEiiiiiiS1_IjLj3EES5_S5_,comdat
.Lfunc_end17:
	.size	_ZL33flash_attn_stream_k_fixup_uniformILi128ELi1ELi8EEvPfPK15HIP_vector_typeIfLj2EEiiiiiiS1_IjLj3EES5_S5_, .Lfunc_end17-_ZL33flash_attn_stream_k_fixup_uniformILi128ELi1ELi8EEvPfPK15HIP_vector_typeIfLj2EEiiiiiiS1_IjLj3EES5_S5_
                                        ; -- End function
	.set _ZL33flash_attn_stream_k_fixup_uniformILi128ELi1ELi8EEvPfPK15HIP_vector_typeIfLj2EEiiiiiiS1_IjLj3EES5_S5_.num_vgpr, 17
	.set _ZL33flash_attn_stream_k_fixup_uniformILi128ELi1ELi8EEvPfPK15HIP_vector_typeIfLj2EEiiiiiiS1_IjLj3EES5_S5_.num_agpr, 0
	.set _ZL33flash_attn_stream_k_fixup_uniformILi128ELi1ELi8EEvPfPK15HIP_vector_typeIfLj2EEiiiiiiS1_IjLj3EES5_S5_.numbered_sgpr, 20
	.set _ZL33flash_attn_stream_k_fixup_uniformILi128ELi1ELi8EEvPfPK15HIP_vector_typeIfLj2EEiiiiiiS1_IjLj3EES5_S5_.num_named_barrier, 0
	.set _ZL33flash_attn_stream_k_fixup_uniformILi128ELi1ELi8EEvPfPK15HIP_vector_typeIfLj2EEiiiiiiS1_IjLj3EES5_S5_.private_seg_size, 0
	.set _ZL33flash_attn_stream_k_fixup_uniformILi128ELi1ELi8EEvPfPK15HIP_vector_typeIfLj2EEiiiiiiS1_IjLj3EES5_S5_.uses_vcc, 1
	.set _ZL33flash_attn_stream_k_fixup_uniformILi128ELi1ELi8EEvPfPK15HIP_vector_typeIfLj2EEiiiiiiS1_IjLj3EES5_S5_.uses_flat_scratch, 0
	.set _ZL33flash_attn_stream_k_fixup_uniformILi128ELi1ELi8EEvPfPK15HIP_vector_typeIfLj2EEiiiiiiS1_IjLj3EES5_S5_.has_dyn_sized_stack, 0
	.set _ZL33flash_attn_stream_k_fixup_uniformILi128ELi1ELi8EEvPfPK15HIP_vector_typeIfLj2EEiiiiiiS1_IjLj3EES5_S5_.has_recursion, 0
	.set _ZL33flash_attn_stream_k_fixup_uniformILi128ELi1ELi8EEvPfPK15HIP_vector_typeIfLj2EEiiiiiiS1_IjLj3EES5_S5_.has_indirect_call, 0
	.section	.AMDGPU.csdata,"",@progbits
; Kernel info:
; codeLenInByte = 828
; TotalNumSgprs: 24
; NumVgprs: 17
; ScratchSize: 0
; MemoryBound: 0
; FloatMode: 240
; IeeeMode: 1
; LDSByteSize: 0 bytes/workgroup (compile time only)
; SGPRBlocks: 2
; VGPRBlocks: 4
; NumSGPRsForWavesPerEU: 24
; NumVGPRsForWavesPerEU: 17
; Occupancy: 10
; WaveLimiterHint : 0
; COMPUTE_PGM_RSRC2:SCRATCH_EN: 0
; COMPUTE_PGM_RSRC2:USER_SGPR: 6
; COMPUTE_PGM_RSRC2:TRAP_HANDLER: 0
; COMPUTE_PGM_RSRC2:TGID_X_EN: 1
; COMPUTE_PGM_RSRC2:TGID_Y_EN: 1
; COMPUTE_PGM_RSRC2:TGID_Z_EN: 1
; COMPUTE_PGM_RSRC2:TIDIG_COMP_CNT: 0
	.section	.text._ZL33flash_attn_stream_k_fixup_generalILi128ELi1ELi8EEvPfPK15HIP_vector_typeIfLj2EEiiiiS1_IjLj3EES5_S5_S5_,"axG",@progbits,_ZL33flash_attn_stream_k_fixup_generalILi128ELi1ELi8EEvPfPK15HIP_vector_typeIfLj2EEiiiiS1_IjLj3EES5_S5_S5_,comdat
	.globl	_ZL33flash_attn_stream_k_fixup_generalILi128ELi1ELi8EEvPfPK15HIP_vector_typeIfLj2EEiiiiS1_IjLj3EES5_S5_S5_ ; -- Begin function _ZL33flash_attn_stream_k_fixup_generalILi128ELi1ELi8EEvPfPK15HIP_vector_typeIfLj2EEiiiiS1_IjLj3EES5_S5_S5_
	.p2align	8
	.type	_ZL33flash_attn_stream_k_fixup_generalILi128ELi1ELi8EEvPfPK15HIP_vector_typeIfLj2EEiiiiS1_IjLj3EES5_S5_S5_,@function
_ZL33flash_attn_stream_k_fixup_generalILi128ELi1ELi8EEvPfPK15HIP_vector_typeIfLj2EEiiiiS1_IjLj3EES5_S5_S5_: ; @_ZL33flash_attn_stream_k_fixup_generalILi128ELi1ELi8EEvPfPK15HIP_vector_typeIfLj2EEiiiiS1_IjLj3EES5_S5_S5_
; %bb.0:
	s_load_dwordx4 s[0:3], s[4:5], 0x10
	s_load_dword s9, s[4:5], 0x50
	s_mov_b32 s12, 0
	s_waitcnt lgkmcnt(0)
	s_mul_hi_i32 s13, s3, s6
	s_cmp_lg_u64 s[12:13], 0
	s_mul_i32 s18, s3, s6
	s_cbranch_scc0 .LBB18_20
; %bb.1:
	s_add_u32 s10, s9, 0
	s_addc_u32 s11, 0, 0
	s_xor_b64 s[10:11], s[10:11], 0
	v_cvt_f32_u32_e32 v1, s10
	v_cvt_f32_u32_e32 v2, s11
	s_sub_u32 s12, 0, s10
	s_subb_u32 s19, 0, s11
	v_madmk_f32 v1, v2, 0x4f800000, v1
	v_rcp_f32_e32 v1, v1
	v_mul_f32_e32 v1, 0x5f7ffffc, v1
	v_mul_f32_e32 v2, 0x2f800000, v1
	v_trunc_f32_e32 v2, v2
	v_madmk_f32 v1, v2, 0xcf800000, v1
	v_cvt_u32_f32_e32 v2, v2
	v_cvt_u32_f32_e32 v1, v1
	v_readfirstlane_b32 s20, v2
	v_readfirstlane_b32 s14, v1
	s_mul_i32 s15, s12, s20
	s_mul_hi_u32 s22, s12, s14
	s_mul_i32 s21, s19, s14
	s_add_i32 s15, s22, s15
	s_add_i32 s15, s15, s21
	s_mul_i32 s23, s12, s14
	s_mul_i32 s22, s14, s15
	s_mul_hi_u32 s24, s14, s23
	s_mul_hi_u32 s21, s14, s15
	s_add_u32 s22, s24, s22
	s_addc_u32 s21, 0, s21
	s_mul_hi_u32 s25, s20, s23
	s_mul_i32 s23, s20, s23
	s_add_u32 s22, s22, s23
	s_mul_hi_u32 s24, s20, s15
	s_addc_u32 s21, s21, s25
	s_addc_u32 s22, s24, 0
	s_mul_i32 s15, s20, s15
	s_add_u32 s15, s21, s15
	s_addc_u32 s21, 0, s22
	s_add_u32 s22, s14, s15
	s_cselect_b64 s[14:15], -1, 0
	s_cmp_lg_u64 s[14:15], 0
	s_addc_u32 s20, s20, s21
	s_mul_i32 s14, s12, s20
	s_mul_hi_u32 s15, s12, s22
	s_add_i32 s14, s15, s14
	s_mul_i32 s19, s19, s22
	s_add_i32 s14, s14, s19
	s_mul_i32 s12, s12, s22
	s_mul_hi_u32 s19, s20, s12
	s_mul_i32 s21, s20, s12
	s_mul_i32 s24, s22, s14
	s_mul_hi_u32 s12, s22, s12
	s_mul_hi_u32 s23, s22, s14
	s_add_u32 s12, s12, s24
	s_addc_u32 s23, 0, s23
	s_add_u32 s12, s12, s21
	s_mul_hi_u32 s15, s20, s14
	s_addc_u32 s12, s23, s19
	s_addc_u32 s15, s15, 0
	s_mul_i32 s14, s20, s14
	s_add_u32 s12, s12, s14
	s_addc_u32 s19, 0, s15
	s_add_u32 s21, s22, s12
	s_cselect_b64 s[14:15], -1, 0
	s_cmp_lg_u64 s[14:15], 0
	s_addc_u32 s19, s20, s19
	s_ashr_i32 s14, s13, 31
	s_add_u32 s12, s18, s14
	s_mov_b32 s15, s14
	s_addc_u32 s13, s13, s14
	s_xor_b64 s[12:13], s[12:13], s[14:15]
	s_mul_i32 s22, s12, s19
	s_mul_hi_u32 s23, s12, s21
	s_mul_hi_u32 s20, s12, s19
	s_add_u32 s22, s23, s22
	s_addc_u32 s20, 0, s20
	s_mul_hi_u32 s24, s13, s21
	s_mul_i32 s21, s13, s21
	s_add_u32 s21, s22, s21
	s_mul_hi_u32 s23, s13, s19
	s_addc_u32 s20, s20, s24
	s_addc_u32 s21, s23, 0
	s_mul_i32 s19, s13, s19
	s_add_u32 s19, s20, s19
	s_addc_u32 s24, 0, s21
	s_mul_i32 s20, s10, s24
	s_mul_hi_u32 s21, s10, s19
	s_add_i32 s20, s21, s20
	s_mul_i32 s21, s11, s19
	s_add_i32 s25, s20, s21
	s_sub_i32 s22, s13, s25
	s_mul_i32 s20, s10, s19
	s_sub_u32 s12, s12, s20
	s_cselect_b64 s[20:21], -1, 0
	s_cmp_lg_u64 s[20:21], 0
	s_subb_u32 s26, s22, s11
	s_sub_u32 s27, s12, s10
	s_cselect_b64 s[22:23], -1, 0
	s_cmp_lg_u64 s[22:23], 0
	s_subb_u32 s22, s26, 0
	s_cmp_ge_u32 s22, s11
	s_cselect_b32 s23, -1, 0
	s_cmp_ge_u32 s27, s10
	s_cselect_b32 s26, -1, 0
	s_cmp_eq_u32 s22, s11
	s_cselect_b32 s22, s26, s23
	s_add_u32 s23, s19, 1
	s_addc_u32 s26, s24, 0
	s_add_u32 s27, s19, 2
	s_addc_u32 s28, s24, 0
	s_cmp_lg_u32 s22, 0
	s_cselect_b32 s22, s27, s23
	s_cselect_b32 s23, s28, s26
	s_cmp_lg_u64 s[20:21], 0
	s_subb_u32 s13, s13, s25
	s_cmp_ge_u32 s13, s11
	s_cselect_b32 s20, -1, 0
	s_cmp_ge_u32 s12, s10
	s_cselect_b32 s10, -1, 0
	s_cmp_eq_u32 s13, s11
	s_cselect_b32 s10, s10, s20
	s_cmp_lg_u32 s10, 0
	s_cselect_b32 s11, s23, s24
	s_cselect_b32 s10, s22, s19
	s_xor_b64 s[12:13], s[14:15], 0
	s_xor_b64 s[10:11], s[10:11], s[12:13]
	s_sub_u32 s10, s10, s12
	s_load_dwordx4 s[12:15], s[4:5], 0x44
	s_cbranch_execnz .LBB18_3
.LBB18_2:
	v_cvt_f32_u32_e32 v1, s9
	s_sub_i32 s10, 0, s9
	v_rcp_iflag_f32_e32 v1, v1
	v_mul_f32_e32 v1, 0x4f7ffffe, v1
	v_cvt_u32_f32_e32 v1, v1
	v_readfirstlane_b32 s11, v1
	s_mul_i32 s10, s10, s11
	s_mul_hi_u32 s10, s11, s10
	s_add_i32 s11, s11, s10
	s_mul_hi_u32 s10, s18, s11
	s_waitcnt lgkmcnt(0)
	s_mul_i32 s15, s10, s9
	s_sub_i32 s15, s18, s15
	s_add_i32 s11, s10, 1
	s_sub_i32 s16, s15, s9
	s_cmp_ge_u32 s15, s9
	s_cselect_b32 s10, s11, s10
	s_cselect_b32 s15, s16, s15
	s_add_i32 s11, s10, 1
	s_cmp_ge_u32 s15, s9
	s_cselect_b32 s10, s11, s10
.LBB18_3:
	s_add_i32 s11, s6, 1
	s_mul_hi_i32 s21, s3, s11
	s_mov_b32 s20, 0
	s_cmp_lg_u64 s[20:21], 0
	s_mul_i32 s11, s3, s11
	s_cbranch_scc0 .LBB18_21
; %bb.4:
	s_add_u32 s16, s9, 0
	s_addc_u32 s17, 0, 0
	s_xor_b64 s[18:19], s[16:17], 0
	v_cvt_f32_u32_e32 v1, s18
	v_cvt_f32_u32_e32 v2, s19
	s_waitcnt lgkmcnt(0)
	s_sub_u32 s15, 0, s18
	s_subb_u32 s20, 0, s19
	v_madmk_f32 v1, v2, 0x4f800000, v1
	v_rcp_f32_e32 v1, v1
	v_mul_f32_e32 v1, 0x5f7ffffc, v1
	v_mul_f32_e32 v2, 0x2f800000, v1
	v_trunc_f32_e32 v2, v2
	v_madmk_f32 v1, v2, 0xcf800000, v1
	v_cvt_u32_f32_e32 v2, v2
	v_cvt_u32_f32_e32 v1, v1
	v_readfirstlane_b32 s24, v2
	v_readfirstlane_b32 s22, v1
	s_mul_i32 s23, s15, s24
	s_mul_hi_u32 s26, s15, s22
	s_mul_i32 s25, s20, s22
	s_add_i32 s23, s26, s23
	s_add_i32 s23, s23, s25
	s_mul_i32 s27, s15, s22
	s_mul_i32 s26, s22, s23
	s_mul_hi_u32 s28, s22, s27
	s_mul_hi_u32 s25, s22, s23
	s_add_u32 s26, s28, s26
	s_addc_u32 s25, 0, s25
	s_mul_hi_u32 s29, s24, s27
	s_mul_i32 s27, s24, s27
	s_add_u32 s26, s26, s27
	s_mul_hi_u32 s28, s24, s23
	s_addc_u32 s25, s25, s29
	s_addc_u32 s26, s28, 0
	s_mul_i32 s23, s24, s23
	s_add_u32 s23, s25, s23
	s_addc_u32 s25, 0, s26
	s_add_u32 s26, s22, s23
	s_cselect_b64 s[22:23], -1, 0
	s_cmp_lg_u64 s[22:23], 0
	s_addc_u32 s24, s24, s25
	s_mul_i32 s22, s15, s24
	s_mul_hi_u32 s23, s15, s26
	s_add_i32 s22, s23, s22
	s_mul_i32 s20, s20, s26
	s_add_i32 s22, s22, s20
	s_mul_i32 s15, s15, s26
	s_mul_hi_u32 s23, s24, s15
	s_mul_i32 s25, s24, s15
	s_mul_i32 s28, s26, s22
	s_mul_hi_u32 s15, s26, s15
	s_mul_hi_u32 s27, s26, s22
	s_add_u32 s15, s15, s28
	s_addc_u32 s27, 0, s27
	s_add_u32 s15, s15, s25
	s_mul_hi_u32 s20, s24, s22
	s_addc_u32 s15, s27, s23
	s_addc_u32 s20, s20, 0
	s_mul_i32 s22, s24, s22
	s_add_u32 s15, s15, s22
	s_addc_u32 s20, 0, s20
	s_add_u32 s15, s26, s15
	s_cselect_b64 s[22:23], -1, 0
	s_cmp_lg_u64 s[22:23], 0
	s_addc_u32 s24, s24, s20
	s_ashr_i32 s22, s21, 31
	s_add_u32 s20, s11, s22
	s_mov_b32 s23, s22
	s_addc_u32 s21, s21, s22
	s_xor_b64 s[20:21], s[20:21], s[22:23]
	s_mul_i32 s26, s20, s24
	s_mul_hi_u32 s27, s20, s15
	s_mul_hi_u32 s25, s20, s24
	s_add_u32 s26, s27, s26
	s_addc_u32 s25, 0, s25
	s_mul_hi_u32 s28, s21, s15
	s_mul_i32 s15, s21, s15
	s_add_u32 s15, s26, s15
	s_mul_hi_u32 s27, s21, s24
	s_addc_u32 s15, s25, s28
	s_addc_u32 s25, s27, 0
	s_mul_i32 s24, s21, s24
	s_add_u32 s15, s15, s24
	s_addc_u32 s28, 0, s25
	s_mul_i32 s24, s18, s28
	s_mul_hi_u32 s25, s18, s15
	s_add_i32 s24, s25, s24
	s_mul_i32 s25, s19, s15
	s_add_i32 s29, s24, s25
	s_sub_i32 s26, s21, s29
	s_mul_i32 s24, s18, s15
	s_sub_u32 s20, s20, s24
	s_cselect_b64 s[24:25], -1, 0
	s_cmp_lg_u64 s[24:25], 0
	s_subb_u32 s30, s26, s19
	s_sub_u32 s31, s20, s18
	s_cselect_b64 s[26:27], -1, 0
	s_cmp_lg_u64 s[26:27], 0
	s_subb_u32 s26, s30, 0
	s_cmp_ge_u32 s26, s19
	s_cselect_b32 s27, -1, 0
	s_cmp_ge_u32 s31, s18
	s_cselect_b32 s30, -1, 0
	s_cmp_eq_u32 s26, s19
	s_cselect_b32 s26, s30, s27
	s_add_u32 s27, s15, 1
	s_addc_u32 s30, s28, 0
	s_add_u32 s31, s15, 2
	s_addc_u32 s33, s28, 0
	s_cmp_lg_u32 s26, 0
	s_cselect_b32 s26, s31, s27
	s_cselect_b32 s27, s33, s30
	s_cmp_lg_u64 s[24:25], 0
	s_subb_u32 s21, s21, s29
	s_cmp_ge_u32 s21, s19
	s_cselect_b32 s24, -1, 0
	s_cmp_ge_u32 s20, s18
	s_cselect_b32 s18, -1, 0
	s_cmp_eq_u32 s21, s19
	s_cselect_b32 s18, s18, s24
	s_cmp_lg_u32 s18, 0
	s_cselect_b32 s19, s27, s28
	s_cselect_b32 s18, s26, s15
	s_xor_b64 s[20:21], s[22:23], 0
	s_xor_b64 s[18:19], s[18:19], s[20:21]
	s_sub_u32 s18, s18, s20
	s_cbranch_execnz .LBB18_6
.LBB18_5:
	v_cvt_f32_u32_e32 v1, s9
	s_waitcnt lgkmcnt(0)
	s_sub_i32 s15, 0, s9
	v_rcp_iflag_f32_e32 v1, v1
	v_mul_f32_e32 v1, 0x4f7ffffe, v1
	v_cvt_u32_f32_e32 v1, v1
	v_readfirstlane_b32 s16, v1
	s_mul_i32 s15, s15, s16
	s_mul_hi_u32 s15, s16, s15
	s_add_i32 s16, s16, s15
	s_mul_hi_u32 s15, s11, s16
	s_mul_i32 s17, s15, s9
	s_sub_i32 s11, s11, s17
	s_add_i32 s16, s15, 1
	s_sub_i32 s17, s11, s9
	s_cmp_ge_u32 s11, s9
	s_cselect_b32 s15, s16, s15
	s_cselect_b32 s11, s17, s11
	s_add_i32 s16, s15, 1
	s_cmp_ge_u32 s11, s9
	s_cselect_b32 s18, s16, s15
.LBB18_6:
	s_cmp_eq_u32 s10, s18
	s_waitcnt lgkmcnt(0)
	s_mul_hi_u32 s11, s10, s12
	s_cselect_b64 s[16:17], -1, 0
	s_add_i32 s11, s11, s10
	s_lshr_b32 s11, s11, s13
	s_mul_i32 s15, s11, s14
	s_cmp_eq_u32 s15, s10
	s_mul_hi_u32 s15, s18, s12
	s_cselect_b64 s[20:21], -1, 0
	s_add_i32 s15, s15, s18
	s_lshr_b32 s15, s15, s13
	s_cmp_eq_u32 s11, s15
	s_mul_i32 s15, s15, s14
	s_cselect_b64 s[22:23], -1, 0
	s_cmp_lg_u32 s15, s18
	s_cselect_b64 s[18:19], -1, 0
	s_and_b64 s[18:19], s[22:23], s[18:19]
	s_or_b64 s[16:17], s[16:17], s[20:21]
	s_or_b64 s[16:17], s[16:17], s[18:19]
	s_and_b64 vcc, exec, s[16:17]
	s_cbranch_vccnz .LBB18_23
; %bb.7:
	s_load_dwordx8 s[20:27], s[4:5], 0x20
	s_load_dword s15, s[4:5], 0x40
	s_waitcnt lgkmcnt(0)
	s_mul_hi_u32 s16, s10, s20
	s_add_i32 s16, s16, s10
	s_lshr_b32 s20, s16, s21
	s_mul_i32 s16, s20, s22
	s_sub_i32 s16, s10, s16
	s_mul_hi_u32 s17, s16, s23
	s_add_i32 s17, s16, s17
	s_lshr_b32 s21, s17, s24
	s_mul_i32 s17, s21, s25
	s_sub_i32 s16, s16, s17
	s_mul_hi_u32 s17, s16, s26
	s_add_i32 s17, s16, s17
	s_lshr_b32 s17, s17, s27
	s_mul_i32 s15, s17, s15
	s_sub_i32 s15, s16, s15
	s_mul_hi_u32 s16, s15, s12
	s_add_i32 s15, s15, s16
	s_lshr_b32 s23, s15, s13
	s_lshl_b32 s24, s17, 3
	s_add_i32 s23, s23, s7
	s_cmp_lt_i32 s23, s0
	s_cselect_b64 s[16:17], -1, 0
	s_add_i32 s24, s24, s8
	s_cmp_lt_i32 s24, s2
	s_cselect_b64 s[18:19], -1, 0
	s_and_b64 s[16:17], s[16:17], s[18:19]
	s_andn2_b64 vcc, exec, s[16:17]
	s_cbranch_vccnz .LBB18_23
; %bb.8:
	s_load_dwordx4 s[16:19], s[4:5], 0x0
	s_mov_b32 s4, 0
	s_lshl_b32 s26, s9, 5
	s_mov_b32 s27, s4
	s_lshl_b64 s[26:27], s[26:27], 2
	s_waitcnt lgkmcnt(0)
	s_add_u32 s15, s18, s26
	s_mul_i32 s20, s20, s0
	s_addc_u32 s22, s19, s27
	s_mul_i32 s21, s21, s2
	s_add_i32 s0, s23, s20
	s_mul_i32 s0, s0, s1
	s_add_i32 s1, s24, s21
	s_add_i32 s1, s1, s0
	v_lshl_or_b32 v1, s1, 7, v0
	v_ashrrev_i32_e32 v2, 31, v1
	v_lshlrev_b64 v[1:2], 2, v[1:2]
	v_mov_b32_e32 v3, s17
	v_add_co_u32_e32 v1, vcc, s16, v1
	v_addc_co_u32_e32 v2, vcc, v3, v2, vcc
	global_load_dword v3, v[1:2], off
	s_add_i32 s0, s7, s6
	v_cvt_f32_u32_e32 v4, s9
	s_lshl_b32 s0, s0, 3
	s_add_i32 s0, s0, s8
	s_ashr_i32 s1, s0, 31
	s_lshl_b64 s[0:1], s[0:1], 3
	v_rcp_iflag_f32_e32 v4, v4
	s_add_u32 s0, s18, s0
	s_addc_u32 s1, s19, s1
	s_load_dwordx2 s[0:1], s[0:1], 0x0
	v_mul_f32_e32 v4, 0x4f7ffffe, v4
	v_cvt_u32_f32_e32 v4, v4
	s_add_i32 s25, s6, -1
	v_lshl_or_b32 v0, s8, 7, v0
	s_waitcnt lgkmcnt(0)
	v_mov_b32_e32 v6, s1
	v_mov_b32_e32 v7, s0
	s_mov_b32 s2, 0x3fb8aa3b
	s_mov_b32 s6, 0xc2ce8ed0
	;; [unrolled: 1-line block ×4, first 2 shown]
	v_mov_b32_e32 v5, 0x7f800000
	s_mul_hi_i32 s5, s25, s3
	s_cmp_lg_u64 s[4:5], 0
	s_mul_i32 s20, s25, s3
	s_cbranch_scc0 .LBB18_19
.LBB18_9:
	s_add_u32 s0, s9, 0
	s_addc_u32 s1, 0, 0
	s_xor_b64 s[0:1], s[0:1], 0
	v_cvt_f32_u32_e32 v8, s0
	v_cvt_f32_u32_e32 v9, s1
	s_sub_u32 s21, 0, s0
	s_subb_u32 s26, 0, s1
	v_mac_f32_e32 v8, 0x4f800000, v9
	v_rcp_f32_e32 v8, v8
	v_mul_f32_e32 v8, 0x5f7ffffc, v8
	v_mul_f32_e32 v9, 0x2f800000, v8
	v_trunc_f32_e32 v9, v9
	v_mac_f32_e32 v8, 0xcf800000, v9
	v_cvt_u32_f32_e32 v9, v9
	v_cvt_u32_f32_e32 v8, v8
	v_readfirstlane_b32 s27, v9
	v_readfirstlane_b32 s16, v8
	s_mul_i32 s17, s21, s27
	s_mul_hi_u32 s29, s21, s16
	s_mul_i32 s28, s26, s16
	s_add_i32 s17, s29, s17
	s_mul_i32 s30, s21, s16
	s_add_i32 s17, s17, s28
	s_mul_i32 s29, s16, s17
	s_mul_hi_u32 s31, s16, s30
	s_mul_hi_u32 s28, s16, s17
	s_add_u32 s29, s31, s29
	s_addc_u32 s28, 0, s28
	s_mul_hi_u32 s33, s27, s30
	s_mul_i32 s30, s27, s30
	s_add_u32 s29, s29, s30
	s_mul_hi_u32 s31, s27, s17
	s_addc_u32 s28, s28, s33
	s_addc_u32 s29, s31, 0
	s_mul_i32 s17, s27, s17
	s_add_u32 s17, s28, s17
	s_addc_u32 s28, 0, s29
	s_add_u32 s29, s16, s17
	s_cselect_b64 s[16:17], -1, 0
	s_cmp_lg_u64 s[16:17], 0
	s_addc_u32 s27, s27, s28
	s_mul_i32 s16, s21, s27
	s_mul_hi_u32 s17, s21, s29
	s_add_i32 s16, s17, s16
	s_mul_i32 s26, s26, s29
	s_add_i32 s16, s16, s26
	s_mul_i32 s21, s21, s29
	s_mul_hi_u32 s26, s27, s21
	s_mul_i32 s28, s27, s21
	s_mul_i32 s31, s29, s16
	s_mul_hi_u32 s21, s29, s21
	s_mul_hi_u32 s30, s29, s16
	s_add_u32 s21, s21, s31
	s_addc_u32 s30, 0, s30
	s_add_u32 s21, s21, s28
	s_mul_hi_u32 s17, s27, s16
	s_addc_u32 s21, s30, s26
	s_addc_u32 s17, s17, 0
	s_mul_i32 s16, s27, s16
	s_add_u32 s16, s21, s16
	s_addc_u32 s21, 0, s17
	s_add_u32 s28, s29, s16
	s_cselect_b64 s[16:17], -1, 0
	s_cmp_lg_u64 s[16:17], 0
	s_addc_u32 s21, s27, s21
	s_ashr_i32 s16, s5, 31
	s_add_u32 s26, s20, s16
	s_mov_b32 s17, s16
	s_addc_u32 s27, s5, s16
	s_xor_b64 s[26:27], s[26:27], s[16:17]
	s_mul_i32 s29, s26, s21
	s_mul_hi_u32 s30, s26, s28
	s_mul_hi_u32 s5, s26, s21
	s_add_u32 s29, s30, s29
	s_addc_u32 s5, 0, s5
	s_mul_hi_u32 s31, s27, s28
	s_mul_i32 s28, s27, s28
	s_add_u32 s28, s29, s28
	s_mul_hi_u32 s30, s27, s21
	s_addc_u32 s5, s5, s31
	s_addc_u32 s28, s30, 0
	s_mul_i32 s21, s27, s21
	s_add_u32 s5, s5, s21
	s_addc_u32 s21, 0, s28
	s_mul_i32 s28, s0, s21
	s_mul_hi_u32 s29, s0, s5
	s_add_i32 s28, s29, s28
	s_mul_i32 s29, s1, s5
	s_add_i32 s33, s28, s29
	s_sub_i32 s30, s27, s33
	s_mul_i32 s28, s0, s5
	s_sub_u32 s26, s26, s28
	s_cselect_b64 s[28:29], -1, 0
	s_cmp_lg_u64 s[28:29], 0
	s_subb_u32 s34, s30, s1
	s_sub_u32 s35, s26, s0
	s_cselect_b64 s[30:31], -1, 0
	s_cmp_lg_u64 s[30:31], 0
	s_subb_u32 s30, s34, 0
	s_cmp_ge_u32 s30, s1
	s_cselect_b32 s31, -1, 0
	s_cmp_ge_u32 s35, s0
	s_cselect_b32 s34, -1, 0
	s_cmp_eq_u32 s30, s1
	s_cselect_b32 s30, s34, s31
	s_add_u32 s31, s5, 1
	s_addc_u32 s34, s21, 0
	s_add_u32 s35, s5, 2
	s_addc_u32 s36, s21, 0
	s_cmp_lg_u32 s30, 0
	s_cselect_b32 s30, s35, s31
	s_cselect_b32 s31, s36, s34
	s_cmp_lg_u64 s[28:29], 0
	s_subb_u32 s27, s27, s33
	s_cmp_ge_u32 s27, s1
	s_cselect_b32 s28, -1, 0
	s_cmp_ge_u32 s26, s0
	s_cselect_b32 s0, -1, 0
	s_cmp_eq_u32 s27, s1
	s_cselect_b32 s0, s0, s28
	s_cmp_lg_u32 s0, 0
	s_cselect_b32 s1, s31, s21
	s_cselect_b32 s0, s30, s5
	s_xor_b64 s[16:17], s[16:17], 0
	s_xor_b64 s[0:1], s[0:1], s[16:17]
	s_sub_u32 s16, s0, s16
	s_cbranch_execnz .LBB18_11
.LBB18_10:
	s_sub_i32 s0, 0, s9
	v_readfirstlane_b32 s1, v4
	s_mul_i32 s0, s0, s1
	s_mul_hi_u32 s0, s1, s0
	s_add_i32 s1, s1, s0
	s_mul_hi_u32 s0, s20, s1
	s_mul_i32 s5, s0, s9
	s_sub_i32 s5, s20, s5
	s_add_i32 s1, s0, 1
	s_sub_i32 s16, s5, s9
	s_cmp_ge_u32 s5, s9
	s_cselect_b32 s0, s1, s0
	s_cselect_b32 s5, s16, s5
	s_add_i32 s1, s0, 1
	s_cmp_ge_u32 s5, s9
	s_cselect_b32 s16, s1, s0
.LBB18_11:
	s_cmp_lg_u32 s10, s16
	s_mov_b64 s[20:21], -1
                                        ; implicit-def: $sgpr0_sgpr1
                                        ; implicit-def: $vgpr10
                                        ; implicit-def: $vgpr8
                                        ; implicit-def: $vgpr9
                                        ; implicit-def: $sgpr5
                                        ; implicit-def: $sgpr17
	s_cbranch_scc1 .LBB18_14
; %bb.12:
	s_andn2_b64 vcc, exec, s[20:21]
	s_cbranch_vccz .LBB18_17
.LBB18_13:
	s_andn2_b64 vcc, exec, s[0:1]
	s_cbranch_vccnz .LBB18_18
	s_branch .LBB18_22
.LBB18_14:
	s_add_i32 s26, s25, s7
	s_add_i32 s0, s26, s9
	s_lshl_b32 s0, s0, 3
	s_add_i32 s0, s0, s8
	s_mov_b32 s1, s4
	s_lshl_b64 s[0:1], s[0:1], 3
	s_add_u32 s20, s18, s0
	s_mul_hi_u32 s0, s16, s12
	s_addc_u32 s21, s19, s1
	s_add_i32 s0, s0, s16
	s_lshr_b32 s5, s0, s13
	s_mul_i32 s0, s5, s14
	s_cmp_eq_u32 s0, s16
	s_cselect_b64 s[0:1], -1, 0
	s_cmp_lt_u32 s5, s11
	s_cselect_b64 s[28:29], -1, 0
	s_or_b64 s[28:29], s[28:29], s[0:1]
	s_mov_b64 s[0:1], -1
	s_and_b64 vcc, exec, s[28:29]
	s_mov_b32 s5, s25
	s_mov_b32 s17, s10
	s_cbranch_vccnz .LBB18_16
; %bb.15:
	s_add_i32 s5, s25, -1
	s_mov_b64 s[0:1], 0
	s_mov_b32 s17, s16
.LBB18_16:
	v_lshl_add_u32 v8, s26, 10, v0
	v_ashrrev_i32_e32 v9, 31, v8
	v_lshlrev_b64 v[8:9], 2, v[8:9]
	v_mov_b32_e32 v10, s22
	v_add_co_u32_e32 v8, vcc, s15, v8
	v_addc_co_u32_e32 v9, vcc, v10, v9, vcc
	global_load_dword v10, v[8:9], off
	s_load_dwordx2 s[20:21], s[20:21], 0x0
	v_max_f32_e32 v8, v7, v7
	s_waitcnt lgkmcnt(0)
	v_max_f32_e64 v9, s20, s20
	v_max_f32_e32 v8, v8, v9
	v_sub_f32_e32 v9, v7, v8
	v_sub_f32_e32 v11, s20, v8
	v_mul_f32_e32 v12, 0x3fb8aa3b, v9
	v_mul_f32_e32 v13, 0x3fb8aa3b, v11
	v_fma_f32 v14, v9, s2, -v12
	v_rndne_f32_e32 v15, v12
	v_fma_f32 v16, v11, s2, -v13
	v_rndne_f32_e32 v17, v13
	v_fmac_f32_e32 v14, 0x32a5705f, v9
	v_sub_f32_e32 v12, v12, v15
	v_fmac_f32_e32 v16, 0x32a5705f, v11
	v_sub_f32_e32 v13, v13, v17
	v_add_f32_e32 v12, v12, v14
	v_cvt_i32_f32_e32 v15, v15
	v_add_f32_e32 v13, v13, v16
	v_exp_f32_e32 v12, v12
	v_cvt_i32_f32_e32 v17, v17
	v_exp_f32_e32 v13, v13
	v_cmp_ngt_f32_e32 vcc, s6, v9
	v_ldexp_f32 v12, v12, v15
	v_cndmask_b32_e32 v12, 0, v12, vcc
	v_ldexp_f32 v13, v13, v17
	v_cmp_ngt_f32_e32 vcc, s6, v11
	v_cndmask_b32_e32 v13, 0, v13, vcc
	v_cmp_nlt_f32_e32 vcc, s23, v9
	v_cndmask_b32_e32 v12, v5, v12, vcc
	v_cmp_nlt_f32_e32 vcc, s23, v11
	v_cndmask_b32_e32 v13, v5, v13, vcc
	v_cmp_le_f32_e32 vcc, s24, v9
	v_cndmask_b32_e32 v12, 0, v12, vcc
	v_cmp_le_f32_e32 vcc, s24, v11
	v_cndmask_b32_e32 v11, 0, v13, vcc
	v_mul_f32_e32 v9, s21, v11
	v_fmac_f32_e32 v9, v6, v12
	s_waitcnt vmcnt(0)
	v_mul_f32_e32 v10, v10, v11
	v_fmac_f32_e32 v10, v3, v12
	s_cbranch_execnz .LBB18_13
.LBB18_17:
	s_add_i32 s5, s25, -1
	s_mov_b32 s17, s10
	v_mov_b32_e32 v9, v6
	v_mov_b32_e32 v8, v7
	s_waitcnt vmcnt(0)
	v_mov_b32_e32 v10, v3
	s_cbranch_execz .LBB18_22
.LBB18_18:
	s_mov_b32 s10, s17
	s_mov_b32 s25, s5
	v_mov_b32_e32 v6, v9
	v_mov_b32_e32 v7, v8
	s_waitcnt vmcnt(0)
	v_mov_b32_e32 v3, v10
	s_mul_hi_i32 s5, s25, s3
	s_cmp_lg_u64 s[4:5], 0
	s_mul_i32 s20, s25, s3
	s_cbranch_scc1 .LBB18_9
.LBB18_19:
                                        ; implicit-def: $sgpr16_sgpr17
	s_branch .LBB18_10
.LBB18_20:
                                        ; implicit-def: $sgpr10_sgpr11
	s_load_dwordx4 s[12:15], s[4:5], 0x44
	s_branch .LBB18_2
.LBB18_21:
                                        ; implicit-def: $sgpr18_sgpr19
	s_branch .LBB18_5
.LBB18_22:
	v_div_scale_f32 v0, s[0:1], v9, v9, v10
	s_waitcnt vmcnt(0)
	v_div_scale_f32 v3, vcc, v10, v9, v10
	v_rcp_f32_e32 v4, v0
	v_fma_f32 v5, -v0, v4, 1.0
	v_fmac_f32_e32 v4, v5, v4
	v_mul_f32_e32 v5, v3, v4
	v_fma_f32 v6, -v0, v5, v3
	v_fmac_f32_e32 v5, v6, v4
	v_fma_f32 v0, -v0, v5, v3
	v_div_fmas_f32 v0, v0, v4, v5
	v_div_fixup_f32 v0, v0, v9, v10
	global_store_dword v[1:2], v0, off
.LBB18_23:
	s_endpgm
	.section	.rodata,"a",@progbits
	.p2align	6, 0x0
	.amdhsa_kernel _ZL33flash_attn_stream_k_fixup_generalILi128ELi1ELi8EEvPfPK15HIP_vector_typeIfLj2EEiiiiS1_IjLj3EES5_S5_S5_
		.amdhsa_group_segment_fixed_size 0
		.amdhsa_private_segment_fixed_size 0
		.amdhsa_kernarg_size 336
		.amdhsa_user_sgpr_count 6
		.amdhsa_user_sgpr_private_segment_buffer 1
		.amdhsa_user_sgpr_dispatch_ptr 0
		.amdhsa_user_sgpr_queue_ptr 0
		.amdhsa_user_sgpr_kernarg_segment_ptr 1
		.amdhsa_user_sgpr_dispatch_id 0
		.amdhsa_user_sgpr_flat_scratch_init 0
		.amdhsa_user_sgpr_private_segment_size 0
		.amdhsa_uses_dynamic_stack 0
		.amdhsa_system_sgpr_private_segment_wavefront_offset 0
		.amdhsa_system_sgpr_workgroup_id_x 1
		.amdhsa_system_sgpr_workgroup_id_y 1
		.amdhsa_system_sgpr_workgroup_id_z 1
		.amdhsa_system_sgpr_workgroup_info 0
		.amdhsa_system_vgpr_workitem_id 0
		.amdhsa_next_free_vgpr 18
		.amdhsa_next_free_sgpr 37
		.amdhsa_reserve_vcc 1
		.amdhsa_reserve_flat_scratch 0
		.amdhsa_float_round_mode_32 0
		.amdhsa_float_round_mode_16_64 0
		.amdhsa_float_denorm_mode_32 3
		.amdhsa_float_denorm_mode_16_64 3
		.amdhsa_dx10_clamp 1
		.amdhsa_ieee_mode 1
		.amdhsa_fp16_overflow 0
		.amdhsa_exception_fp_ieee_invalid_op 0
		.amdhsa_exception_fp_denorm_src 0
		.amdhsa_exception_fp_ieee_div_zero 0
		.amdhsa_exception_fp_ieee_overflow 0
		.amdhsa_exception_fp_ieee_underflow 0
		.amdhsa_exception_fp_ieee_inexact 0
		.amdhsa_exception_int_div_zero 0
	.end_amdhsa_kernel
	.section	.text._ZL33flash_attn_stream_k_fixup_generalILi128ELi1ELi8EEvPfPK15HIP_vector_typeIfLj2EEiiiiS1_IjLj3EES5_S5_S5_,"axG",@progbits,_ZL33flash_attn_stream_k_fixup_generalILi128ELi1ELi8EEvPfPK15HIP_vector_typeIfLj2EEiiiiS1_IjLj3EES5_S5_S5_,comdat
.Lfunc_end18:
	.size	_ZL33flash_attn_stream_k_fixup_generalILi128ELi1ELi8EEvPfPK15HIP_vector_typeIfLj2EEiiiiS1_IjLj3EES5_S5_S5_, .Lfunc_end18-_ZL33flash_attn_stream_k_fixup_generalILi128ELi1ELi8EEvPfPK15HIP_vector_typeIfLj2EEiiiiS1_IjLj3EES5_S5_S5_
                                        ; -- End function
	.set _ZL33flash_attn_stream_k_fixup_generalILi128ELi1ELi8EEvPfPK15HIP_vector_typeIfLj2EEiiiiS1_IjLj3EES5_S5_S5_.num_vgpr, 18
	.set _ZL33flash_attn_stream_k_fixup_generalILi128ELi1ELi8EEvPfPK15HIP_vector_typeIfLj2EEiiiiS1_IjLj3EES5_S5_S5_.num_agpr, 0
	.set _ZL33flash_attn_stream_k_fixup_generalILi128ELi1ELi8EEvPfPK15HIP_vector_typeIfLj2EEiiiiS1_IjLj3EES5_S5_S5_.numbered_sgpr, 37
	.set _ZL33flash_attn_stream_k_fixup_generalILi128ELi1ELi8EEvPfPK15HIP_vector_typeIfLj2EEiiiiS1_IjLj3EES5_S5_S5_.num_named_barrier, 0
	.set _ZL33flash_attn_stream_k_fixup_generalILi128ELi1ELi8EEvPfPK15HIP_vector_typeIfLj2EEiiiiS1_IjLj3EES5_S5_S5_.private_seg_size, 0
	.set _ZL33flash_attn_stream_k_fixup_generalILi128ELi1ELi8EEvPfPK15HIP_vector_typeIfLj2EEiiiiS1_IjLj3EES5_S5_S5_.uses_vcc, 1
	.set _ZL33flash_attn_stream_k_fixup_generalILi128ELi1ELi8EEvPfPK15HIP_vector_typeIfLj2EEiiiiS1_IjLj3EES5_S5_S5_.uses_flat_scratch, 0
	.set _ZL33flash_attn_stream_k_fixup_generalILi128ELi1ELi8EEvPfPK15HIP_vector_typeIfLj2EEiiiiS1_IjLj3EES5_S5_S5_.has_dyn_sized_stack, 0
	.set _ZL33flash_attn_stream_k_fixup_generalILi128ELi1ELi8EEvPfPK15HIP_vector_typeIfLj2EEiiiiS1_IjLj3EES5_S5_S5_.has_recursion, 0
	.set _ZL33flash_attn_stream_k_fixup_generalILi128ELi1ELi8EEvPfPK15HIP_vector_typeIfLj2EEiiiiS1_IjLj3EES5_S5_S5_.has_indirect_call, 0
	.section	.AMDGPU.csdata,"",@progbits
; Kernel info:
; codeLenInByte = 2920
; TotalNumSgprs: 41
; NumVgprs: 18
; ScratchSize: 0
; MemoryBound: 0
; FloatMode: 240
; IeeeMode: 1
; LDSByteSize: 0 bytes/workgroup (compile time only)
; SGPRBlocks: 5
; VGPRBlocks: 4
; NumSGPRsForWavesPerEU: 41
; NumVGPRsForWavesPerEU: 18
; Occupancy: 10
; WaveLimiterHint : 0
; COMPUTE_PGM_RSRC2:SCRATCH_EN: 0
; COMPUTE_PGM_RSRC2:USER_SGPR: 6
; COMPUTE_PGM_RSRC2:TRAP_HANDLER: 0
; COMPUTE_PGM_RSRC2:TGID_X_EN: 1
; COMPUTE_PGM_RSRC2:TGID_Y_EN: 1
; COMPUTE_PGM_RSRC2:TGID_Z_EN: 1
; COMPUTE_PGM_RSRC2:TIDIG_COMP_CNT: 0
	.section	.text._ZL15flash_attn_tileILi192ELi128ELi2ELi16ELb1EEvPKcS1_S1_S1_S1_PKiPfP15HIP_vector_typeIfLj2EEffffjfiS5_IjLj3EEiiiiiiiiiiiliiliiiiil,"axG",@progbits,_ZL15flash_attn_tileILi192ELi128ELi2ELi16ELb1EEvPKcS1_S1_S1_S1_PKiPfP15HIP_vector_typeIfLj2EEffffjfiS5_IjLj3EEiiiiiiiiiiiliiliiiiil,comdat
	.globl	_ZL15flash_attn_tileILi192ELi128ELi2ELi16ELb1EEvPKcS1_S1_S1_S1_PKiPfP15HIP_vector_typeIfLj2EEffffjfiS5_IjLj3EEiiiiiiiiiiiliiliiiiil ; -- Begin function _ZL15flash_attn_tileILi192ELi128ELi2ELi16ELb1EEvPKcS1_S1_S1_S1_PKiPfP15HIP_vector_typeIfLj2EEffffjfiS5_IjLj3EEiiiiiiiiiiiliiliiiiil
	.p2align	8
	.type	_ZL15flash_attn_tileILi192ELi128ELi2ELi16ELb1EEvPKcS1_S1_S1_S1_PKiPfP15HIP_vector_typeIfLj2EEffffjfiS5_IjLj3EEiiiiiiiiiiiliiliiiiil,@function
_ZL15flash_attn_tileILi192ELi128ELi2ELi16ELb1EEvPKcS1_S1_S1_S1_PKiPfP15HIP_vector_typeIfLj2EEffffjfiS5_IjLj3EEiiiiiiiiiiiliiliiiiil: ; @_ZL15flash_attn_tileILi192ELi128ELi2ELi16ELb1EEvPKcS1_S1_S1_S1_PKiPfP15HIP_vector_typeIfLj2EEffffjfiS5_IjLj3EEiiiiiiiiiiiliiliiiiil
; %bb.0:
	s_load_dwordx4 s[0:3], s[4:5], 0x5c
	s_load_dwordx2 s[28:29], s[4:5], 0x80
	s_load_dwordx2 s[34:35], s[4:5], 0xb8
	s_mov_b64 s[30:31], 0
	s_waitcnt lgkmcnt(0)
	s_ashr_i32 s9, s3, 31
	s_lshr_b32 s9, s9, 28
	s_add_i32 s9, s3, s9
	s_ashr_i32 s9, s9, 4
	v_cvt_f32_u32_e32 v2, s9
	s_sub_i32 s10, 0, s9
	v_rcp_iflag_f32_e32 v2, v2
	v_mul_f32_e32 v2, 0x4f7ffffe, v2
	v_cvt_u32_f32_e32 v2, v2
	v_readfirstlane_b32 s11, v2
	s_mul_i32 s10, s10, s11
	s_mul_hi_u32 s10, s11, s10
	s_add_i32 s11, s11, s10
	s_mul_hi_u32 s10, s8, s11
	s_mul_i32 s11, s10, s9
	s_sub_i32 s11, s8, s11
	s_add_i32 s12, s10, 1
	s_sub_i32 s13, s11, s9
	s_cmp_ge_u32 s11, s9
	s_cselect_b32 s10, s12, s10
	s_cselect_b32 s11, s13, s11
	s_add_i32 s12, s10, 1
	s_cmp_ge_u32 s11, s9
	s_cselect_b32 s33, s12, s10
	s_abs_i32 s9, s29
	v_cvt_f32_u32_e32 v2, s9
	s_lshl_b32 s8, s8, 4
	s_mul_i32 s12, s33, s3
	s_xor_b32 s10, s3, s29
	v_rcp_iflag_f32_e32 v2, v2
	s_sub_i32 s13, 0, s9
	s_sub_i32 s29, s8, s12
	s_abs_i32 s11, s3
	v_mul_f32_e32 v2, 0x4f7ffffe, v2
	v_cvt_u32_f32_e32 v2, v2
	s_ashr_i32 s10, s10, 31
	v_readfirstlane_b32 s8, v2
	s_mul_i32 s13, s13, s8
	s_mul_hi_u32 s12, s8, s13
	s_add_i32 s8, s8, s12
	s_mul_hi_u32 s8, s11, s8
	s_mul_i32 s12, s8, s9
	s_sub_i32 s11, s11, s12
	s_add_i32 s13, s8, 1
	s_sub_i32 s12, s11, s9
	s_cmp_ge_u32 s11, s9
	s_cselect_b32 s8, s13, s8
	s_cselect_b32 s11, s12, s11
	s_add_i32 s12, s8, 1
	s_cmp_ge_u32 s11, s9
	s_cselect_b32 s8, s12, s8
	s_xor_b32 s8, s8, s10
	s_sub_i32 s37, s8, s10
	s_abs_i32 s36, s37
	v_cvt_f32_u32_e32 v2, s36
	s_load_dwordx16 s[8:23], s[4:5], 0x0
	v_rcp_iflag_f32_e32 v2, v2
	s_waitcnt lgkmcnt(0)
	s_cmp_eq_u64 s[14:15], 0
	v_mul_f32_e32 v2, 0x4f7ffffe, v2
	v_cvt_u32_f32_e32 v2, v2
	v_readfirstlane_b32 s24, v2
	s_cbranch_scc1 .LBB19_2
; %bb.1:
	s_abs_i32 s25, s34
	v_cvt_f32_u32_e32 v2, s25
	s_sub_i32 s34, 0, s25
	s_abs_i32 s31, s33
	s_ashr_i32 s30, s33, 31
	v_rcp_iflag_f32_e32 v2, v2
	s_load_dwordx2 s[26:27], s[4:5], 0xc8
	v_mul_f32_e32 v2, 0x4f7ffffe, v2
	v_cvt_u32_f32_e32 v2, v2
	v_readfirstlane_b32 s38, v2
	s_mul_i32 s34, s34, s38
	s_mul_hi_u32 s34, s38, s34
	s_add_i32 s38, s38, s34
	s_mul_hi_u32 s34, s31, s38
	s_mul_i32 s34, s34, s25
	s_sub_i32 s31, s31, s34
	s_sub_i32 s34, s31, s25
	s_cmp_ge_u32 s31, s25
	s_cselect_b32 s31, s34, s31
	s_sub_i32 s34, s31, s25
	s_cmp_ge_u32 s31, s25
	s_cselect_b32 s25, s34, s31
	s_xor_b32 s25, s25, s30
	s_sub_i32 s25, s25, s30
	s_ashr_i32 s30, s25, 31
	s_waitcnt lgkmcnt(0)
	s_mul_hi_u32 s31, s26, s25
	s_mul_i32 s30, s26, s30
	s_mul_i32 s27, s27, s25
	s_add_i32 s30, s31, s30
	s_add_i32 s27, s30, s27
	s_mul_i32 s25, s26, s25
	s_add_u32 s30, s14, s25
	s_addc_u32 s31, s15, s27
.LBB19_2:
	v_lshrrev_b32_e32 v2, 2, v1
	s_load_dwordx4 s[40:43], s[4:5], 0x70
	v_lshl_add_u32 v13, s6, 1, v2
	v_mul_hi_u32 v2, s0, v13
	v_lshlrev_b32_e32 v9, 2, v1
	v_and_b32_e32 v14, 12, v9
	s_waitcnt lgkmcnt(0)
	s_mul_i32 s0, s33, s42
	v_add_u32_e32 v2, v13, v2
	s_ashr_i32 s15, s0, 31
	v_lshrrev_b32_e32 v2, s1, v2
	s_mul_i32 s14, s29, s41
	s_add_u32 s0, s8, s0
	v_mul_lo_u32 v2, v2, s2
	s_addc_u32 s8, s9, s15
	s_ashr_i32 s9, s14, 31
	s_add_u32 s14, s0, s14
	s_addc_u32 s15, s8, s9
	s_ashr_i32 s1, s41, 31
	s_mov_b32 s0, s41
	s_ashr_i32 s41, s40, 31
	v_sub_u32_e32 v4, v13, v2
	s_lshr_b64 s[8:9], s[40:41], 2
	v_mad_u64_u32 v[2:3], s[8:9], s8, v4, 0
	s_lshr_b32 s8, s41, 2
	v_lshlrev_b32_e32 v11, 3, v0
	v_mad_u64_u32 v[5:6], s[8:9], s8, v4, v[3:4]
	s_lshr_b64 s[8:9], s[0:1], 2
	s_movk_i32 s0, 0x600
	v_mov_b32_e32 v3, v5
	v_lshlrev_b64 v[2:3], 2, v[2:3]
	v_mov_b32_e32 v5, s15
	v_add_co_u32_e32 v6, vcc, s14, v2
	v_addc_co_u32_e32 v7, vcc, v5, v3, vcc
	v_mad_u64_u32 v[2:3], s[14:15], s8, v14, 0
	v_lshlrev_b32_e32 v5, 4, v0
	v_add_co_u32_e32 v5, vcc, v6, v5
	v_mad_i32_i24 v3, s1, v14, v3
	v_lshlrev_b64 v[2:3], 2, v[2:3]
	v_addc_co_u32_e32 v6, vcc, 0, v7, vcc
	v_add_co_u32_e32 v2, vcc, v5, v2
	v_addc_co_u32_e32 v3, vcc, v6, v3, vcc
	global_load_dwordx4 v[15:18], v[2:3], off
	s_load_dword s14, s[4:5], 0x40
	v_mul_u32_u24_e32 v12, 0x600, v1
	v_mad_u32_u24 v10, v1, s0, v11
	v_cmp_gt_u32_e32 vcc, 16, v0
	s_waitcnt vmcnt(0) lgkmcnt(0)
	v_fma_mixlo_f16 v7, s14, v15, 0
	v_fma_mixlo_f16 v8, s14, v16, 0
	;; [unrolled: 1-line block ×4, first 2 shown]
	v_lshlrev_b32_e32 v8, 16, v8
	v_and_b32_e32 v7, 0xffff, v7
	v_lshlrev_b32_e32 v16, 16, v16
	v_and_b32_e32 v15, 0xffff, v15
	v_or_b32_e32 v7, v8, v7
	v_or3_b32 v8, v16, v15, 0
	v_or3_b32 v7, 0, 0, v7
	ds_write_b64 v10, v[7:8]
	s_and_saveexec_b64 s[0:1], vcc
	s_cbranch_execz .LBB19_4
; %bb.3:
	global_load_dwordx4 v[15:18], v[2:3], off offset:512
	s_waitcnt vmcnt(0)
	v_fma_mixlo_f16 v2, s14, v15, 0
	v_fma_mixlo_f16 v3, s14, v16, 0
	;; [unrolled: 1-line block ×4, first 2 shown]
	v_lshlrev_b32_e32 v3, 16, v3
	v_and_b32_e32 v2, 0xffff, v2
	v_lshlrev_b32_e32 v8, 16, v8
	v_and_b32_e32 v7, 0xffff, v7
	v_or_b32_e32 v2, v3, v2
	v_or3_b32 v3, v8, v7, 0
	v_or3_b32 v2, 0, 0, v2
	v_add_u32_e32 v7, v11, v12
	ds_write_b64 v7, v[2:3] offset:256
.LBB19_4:
	s_or_b64 exec, exec, s[0:1]
	v_or_b32_e32 v10, 1, v9
	v_and_b32_e32 v7, 13, v10
	v_mad_u64_u32 v[2:3], s[0:1], s8, v7, 0
	v_mul_u32_u24_e32 v19, 0x180, v10
	v_mad_u64_u32 v[7:8], s[0:1], s9, v7, v[3:4]
	v_mov_b32_e32 v3, v7
	v_lshlrev_b64 v[2:3], 2, v[2:3]
	v_add_co_u32_e64 v2, s[0:1], v5, v2
	v_addc_co_u32_e64 v3, s[0:1], v6, v3, s[0:1]
	global_load_dwordx4 v[15:18], v[2:3], off
	s_movk_i32 s0, 0x180
	v_mad_u32_u24 v10, v10, s0, v11
	s_waitcnt vmcnt(0)
	v_fma_mixlo_f16 v7, s14, v15, 0
	v_fma_mixlo_f16 v8, s14, v16, 0
	;; [unrolled: 1-line block ×4, first 2 shown]
	v_lshlrev_b32_e32 v8, 16, v8
	v_and_b32_e32 v7, 0xffff, v7
	v_lshlrev_b32_e32 v16, 16, v16
	v_and_b32_e32 v15, 0xffff, v15
	v_or_b32_e32 v7, v8, v7
	v_or3_b32 v8, v16, v15, 0
	v_or3_b32 v7, 0, 0, v7
	ds_write_b64 v10, v[7:8]
	v_add_u32_e32 v7, v11, v19
	s_and_saveexec_b64 s[0:1], vcc
	s_cbranch_execz .LBB19_6
; %bb.5:
	global_load_dwordx4 v[15:18], v[2:3], off offset:512
	s_waitcnt vmcnt(0)
	v_fma_mixlo_f16 v2, s14, v15, 0
	v_fma_mixlo_f16 v3, s14, v16, 0
	;; [unrolled: 1-line block ×4, first 2 shown]
	v_lshlrev_b32_e32 v3, 16, v3
	v_and_b32_e32 v2, 0xffff, v2
	v_lshlrev_b32_e32 v10, 16, v10
	v_and_b32_e32 v8, 0xffff, v8
	v_or_b32_e32 v2, v3, v2
	v_or3_b32 v3, v10, v8, 0
	v_or3_b32 v2, 0, 0, v2
	ds_write_b64 v7, v[2:3] offset:256
.LBB19_6:
	s_or_b64 exec, exec, s[0:1]
	v_or_b32_e32 v2, 2, v9
	v_and_b32_e32 v8, 14, v2
	v_mad_u64_u32 v[2:3], s[0:1], s8, v8, 0
	v_mad_u64_u32 v[15:16], s[0:1], s9, v8, v[3:4]
	v_mov_b32_e32 v3, v15
	v_lshlrev_b64 v[2:3], 2, v[2:3]
	v_add_co_u32_e64 v2, s[0:1], v5, v2
	v_addc_co_u32_e64 v3, s[0:1], v6, v3, s[0:1]
	global_load_dwordx4 v[15:18], v[2:3], off
	s_waitcnt vmcnt(0)
	v_fma_mixlo_f16 v8, s14, v15, 0
	v_fma_mixlo_f16 v10, s14, v16, 0
	;; [unrolled: 1-line block ×4, first 2 shown]
	v_lshlrev_b32_e32 v10, 16, v10
	v_and_b32_e32 v8, 0xffff, v8
	v_lshlrev_b32_e32 v16, 16, v16
	v_and_b32_e32 v15, 0xffff, v15
	v_or_b32_e32 v8, v10, v8
	v_or3_b32 v16, v16, v15, 0
	v_or3_b32 v15, 0, 0, v8
	ds_write_b64 v7, v[15:16] offset:384
	s_and_saveexec_b64 s[0:1], vcc
	s_cbranch_execz .LBB19_8
; %bb.7:
	global_load_dwordx4 v[15:18], v[2:3], off offset:512
	s_waitcnt vmcnt(0)
	v_fma_mixlo_f16 v2, s14, v15, 0
	v_fma_mixlo_f16 v3, s14, v16, 0
	;; [unrolled: 1-line block ×4, first 2 shown]
	v_lshlrev_b32_e32 v3, 16, v3
	v_and_b32_e32 v2, 0xffff, v2
	v_lshlrev_b32_e32 v10, 16, v10
	v_and_b32_e32 v8, 0xffff, v8
	v_or_b32_e32 v2, v3, v2
	v_or3_b32 v3, v10, v8, 0
	v_or3_b32 v2, 0, 0, v2
	ds_write_b64 v7, v[2:3] offset:640
.LBB19_8:
	s_or_b64 exec, exec, s[0:1]
	v_or_b32_e32 v2, 3, v9
	v_and_b32_e32 v8, 15, v2
	v_mad_u64_u32 v[2:3], s[0:1], s8, v8, 0
	v_mad_u64_u32 v[15:16], s[0:1], s9, v8, v[3:4]
	v_mov_b32_e32 v3, v15
	v_lshlrev_b64 v[2:3], 2, v[2:3]
	v_add_co_u32_e64 v2, s[0:1], v5, v2
	v_addc_co_u32_e64 v3, s[0:1], v6, v3, s[0:1]
	global_load_dwordx4 v[15:18], v[2:3], off
	s_waitcnt vmcnt(0)
	v_fma_mixlo_f16 v5, s14, v15, 0
	v_fma_mixlo_f16 v6, s14, v16, 0
	;; [unrolled: 1-line block ×4, first 2 shown]
	v_lshlrev_b32_e32 v6, 16, v6
	v_and_b32_e32 v5, 0xffff, v5
	v_lshlrev_b32_e32 v10, 16, v10
	v_and_b32_e32 v8, 0xffff, v8
	v_or_b32_e32 v5, v6, v5
	v_or3_b32 v6, v10, v8, 0
	v_or3_b32 v5, 0, 0, v5
	ds_write_b64 v7, v[5:6] offset:768
	s_and_saveexec_b64 s[0:1], vcc
	s_cbranch_execz .LBB19_10
; %bb.9:
	global_load_dwordx4 v[15:18], v[2:3], off offset:512
	s_waitcnt vmcnt(0)
	v_fma_mixlo_f16 v2, s14, v15, 0
	v_fma_mixlo_f16 v3, s14, v16, 0
	v_fma_mixlo_f16 v5, s14, v17, 0
	v_fma_mixlo_f16 v6, s14, v18, 0
	v_lshlrev_b32_e32 v3, 16, v3
	v_and_b32_e32 v2, 0xffff, v2
	v_lshlrev_b32_e32 v6, 16, v6
	v_and_b32_e32 v5, 0xffff, v5
	v_or_b32_e32 v2, v3, v2
	v_or3_b32 v3, v6, v5, 0
	v_or3_b32 v2, 0, 0, v2
	ds_write_b64 v7, v[2:3] offset:1024
.LBB19_10:
	s_or_b64 exec, exec, s[0:1]
	s_cmp_eq_u64 s[18:19], 0
	s_waitcnt lgkmcnt(0)
	s_barrier
	s_cbranch_scc1 .LBB19_12
; %bb.11:
	s_load_dword s0, s[4:5], 0xd0
	s_mov_b32 s1, 0
	s_waitcnt lgkmcnt(0)
	s_mul_i32 s0, s0, s33
	s_add_i32 s0, s0, s6
	s_lshl_b64 s[0:1], s[0:1], 2
	s_add_u32 s0, s18, s0
	s_addc_u32 s1, s19, s1
	s_load_dword s28, s[0:1], 0x0
.LBB19_12:
	s_lshl_b32 s6, s7, 5
	s_waitcnt lgkmcnt(0)
	s_cmp_lt_i32 s6, s28
	v_mbcnt_lo_u32_b32 v2, -1, 0
	s_cbranch_scc1 .LBB19_18
; %bb.13:
	v_mbcnt_hi_u32_b32 v10, -1, v2
	v_and_b32_e32 v3, 0x60, v10
	v_add_u32_e32 v5, 32, v3
	v_xor_b32_e32 v6, 16, v10
	v_xor_b32_e32 v7, 8, v10
	;; [unrolled: 1-line block ×5, first 2 shown]
	v_lshlrev_b32_e32 v15, 2, v0
	s_cbranch_execz .LBB19_19
; %bb.14:
	v_mov_b32_e32 v34, 0
	v_mov_b32_e32 v50, 0
	;; [unrolled: 1-line block ×16, first 2 shown]
.LBB19_15:
	v_cmp_lt_i32_e32 vcc, v6, v5
	v_cndmask_b32_e32 v6, v10, v6, vcc
	v_cmp_lt_i32_e32 vcc, v7, v5
	v_cndmask_b32_e32 v7, v10, v7, vcc
	;; [unrolled: 2-line block ×3, first 2 shown]
	v_cmp_lt_i32_e32 vcc, v48, v5
	v_lshlrev_b32_e32 v6, 2, v6
	v_cndmask_b32_e32 v12, v10, v48, vcc
	v_cmp_lt_i32_e32 vcc, v49, v5
	ds_bpermute_b32 v9, v6, v45
	v_cndmask_b32_e32 v5, v10, v49, vcc
	v_lshlrev_b32_e32 v10, 2, v12
	ds_bpermute_b32 v12, v6, v46
	ds_bpermute_b32 v19, v6, v47
	ds_bpermute_b32 v6, v6, v50
	v_lshlrev_b32_e32 v7, 2, v7
	s_waitcnt lgkmcnt(3)
	v_add_f32_e32 v9, v45, v9
	s_waitcnt lgkmcnt(2)
	v_add_f32_e32 v12, v46, v12
	s_waitcnt lgkmcnt(1)
	v_add_f32_e32 v19, v47, v19
	s_waitcnt lgkmcnt(0)
	v_add_f32_e32 v6, v50, v6
	ds_bpermute_b32 v11, v7, v9
	ds_bpermute_b32 v20, v7, v12
	ds_bpermute_b32 v21, v7, v19
	ds_bpermute_b32 v7, v7, v6
	v_lshlrev_b32_e32 v8, 2, v8
	s_waitcnt lgkmcnt(3)
	v_add_f32_e32 v9, v9, v11
	s_waitcnt lgkmcnt(2)
	v_add_f32_e32 v12, v12, v20
	s_waitcnt lgkmcnt(1)
	v_add_f32_e32 v19, v19, v21
	s_waitcnt lgkmcnt(0)
	v_add_f32_e32 v6, v6, v7
	ds_bpermute_b32 v11, v8, v9
	;; [unrolled: 13-line block ×3, first 2 shown]
	ds_bpermute_b32 v12, v10, v8
	ds_bpermute_b32 v20, v10, v19
	ds_bpermute_b32 v7, v10, v6
	s_cmp_lg_u64 s[16:17], 0
	s_waitcnt lgkmcnt(3)
	v_add_f32_e32 v9, v9, v11
	s_waitcnt lgkmcnt(2)
	v_add_f32_e32 v8, v8, v12
	;; [unrolled: 2-line block ×4, first 2 shown]
	ds_bpermute_b32 v11, v5, v9
	ds_bpermute_b32 v10, v5, v8
	ds_bpermute_b32 v19, v5, v12
	ds_bpermute_b32 v21, v5, v20
	s_cselect_b64 s[0:1], -1, 0
	s_cmp_eq_u32 s7, 0
	s_cselect_b64 s[8:9], -1, 0
	s_and_b64 s[0:1], s[8:9], s[0:1]
	s_waitcnt lgkmcnt(3)
	v_add_f32_e32 v5, v9, v11
	s_waitcnt lgkmcnt(2)
	v_add_f32_e32 v6, v8, v10
	;; [unrolled: 2-line block ×4, first 2 shown]
	s_and_b64 vcc, exec, s[0:1]
	s_cbranch_vccz .LBB19_38
; %bb.16:
	v_add_u32_e32 v9, s29, v14
	v_ashrrev_i32_e32 v10, 31, v9
	v_lshlrev_b64 v[9:10], 2, v[9:10]
	v_mov_b32_e32 v11, s17
	v_add_co_u32_e32 v9, vcc, s16, v9
	v_addc_co_u32_e32 v10, vcc, v11, v10, vcc
	global_load_dwordx4 v[9:12], v[9:10], off
	v_max_f32_e32 v19, v1, v1
	v_max_f32_e32 v20, v2, v2
	s_mov_b32 s6, 0x3fb8aa3b
	v_max_f32_e32 v21, v3, v3
	s_mov_b32 s1, 0xc2ce8ed0
	s_mov_b32 s0, 0x42b17218
	v_mov_b32_e32 v23, 0x7f800000
	s_waitcnt vmcnt(0)
	v_max_f32_e32 v22, v9, v9
	v_max_f32_e32 v19, v19, v22
	;; [unrolled: 1-line block ×3, first 2 shown]
	v_sub_f32_e32 v1, v1, v19
	v_max_f32_e32 v20, v20, v25
	v_sub_f32_e32 v9, v9, v19
	v_mul_f32_e32 v22, 0x3fb8aa3b, v1
	v_max_f32_e32 v26, v11, v11
	v_sub_f32_e32 v2, v2, v20
	v_mul_f32_e32 v25, 0x3fb8aa3b, v9
	v_fma_f32 v31, v1, s6, -v22
	v_rndne_f32_e32 v32, v22
	v_max_f32_e32 v21, v21, v26
	v_sub_f32_e32 v10, v10, v20
	v_mul_f32_e32 v26, 0x3fb8aa3b, v2
	v_fma_f32 v33, v9, s6, -v25
	v_rndne_f32_e32 v37, v25
	v_fmac_f32_e32 v31, 0x32a5705f, v1
	v_sub_f32_e32 v22, v22, v32
	v_mul_f32_e32 v28, 0x3fb8aa3b, v10
	v_fma_f32 v38, v2, s6, -v26
	v_rndne_f32_e32 v39, v26
	v_fmac_f32_e32 v33, 0x32a5705f, v9
	v_sub_f32_e32 v25, v25, v37
	v_add_f32_e32 v22, v22, v31
	v_fma_f32 v40, v10, s6, -v28
	v_rndne_f32_e32 v41, v28
	v_cvt_i32_f32_e32 v32, v32
	v_fmac_f32_e32 v38, 0x32a5705f, v2
	v_sub_f32_e32 v26, v26, v39
	v_add_f32_e32 v25, v25, v33
	v_exp_f32_e32 v22, v22
	v_cvt_i32_f32_e32 v37, v37
	v_fmac_f32_e32 v40, 0x32a5705f, v10
	v_sub_f32_e32 v28, v28, v41
	v_add_f32_e32 v26, v26, v38
	v_exp_f32_e32 v25, v25
	v_cvt_i32_f32_e32 v39, v39
	v_add_f32_e32 v28, v28, v40
	v_exp_f32_e32 v26, v26
	v_cvt_i32_f32_e32 v41, v41
	v_exp_f32_e32 v28, v28
	v_ldexp_f32 v22, v22, v32
	v_cmp_ngt_f32_e32 vcc, s1, v1
	v_ldexp_f32 v25, v25, v37
	v_cndmask_b32_e32 v22, 0, v22, vcc
	v_cmp_ngt_f32_e32 vcc, s1, v9
	v_ldexp_f32 v26, v26, v39
	v_cndmask_b32_e32 v25, 0, v25, vcc
	;; [unrolled: 3-line block ×3, first 2 shown]
	v_cmp_ngt_f32_e32 vcc, s1, v10
	v_cndmask_b32_e32 v28, 0, v28, vcc
	v_cmp_nlt_f32_e32 vcc, s0, v1
	v_cndmask_b32_e32 v1, v23, v22, vcc
	v_cmp_nlt_f32_e32 vcc, s0, v9
	v_sub_f32_e32 v3, v3, v21
	v_cndmask_b32_e32 v9, v23, v25, vcc
	v_cmp_nlt_f32_e32 vcc, s0, v2
	v_mul_f32_e32 v29, 0x3fb8aa3b, v3
	v_cndmask_b32_e32 v2, v23, v26, vcc
	v_sub_f32_e32 v11, v11, v21
	v_fma_f32 v42, v3, s6, -v29
	v_rndne_f32_e32 v43, v29
	v_cvt_f16_f32_e32 v22, v1
	v_cvt_f16_f32_e32 v25, v2
	v_mul_f32_e32 v30, 0x3fb8aa3b, v11
	v_fmac_f32_e32 v42, 0x32a5705f, v3
	v_sub_f32_e32 v29, v29, v43
	v_fma_f32 v44, v11, s6, -v30
	v_rndne_f32_e32 v45, v30
	v_add_f32_e32 v29, v29, v42
	v_cmp_nlt_f32_e32 vcc, s0, v10
	v_cvt_i32_f32_e32 v43, v43
	v_fmac_f32_e32 v44, 0x32a5705f, v11
	v_sub_f32_e32 v30, v30, v45
	v_exp_f32_e32 v29, v29
	v_cndmask_b32_e32 v10, v23, v28, vcc
	v_add_f32_e32 v30, v30, v44
	v_fmac_f32_e32 v9, v5, v1
	v_fmac_f32_e32 v10, v6, v2
	v_mul_u32_u24_e32 v1, 0x10001, v22
	v_mul_u32_u24_e32 v2, 0x10001, v25
	v_pk_mul_f16 v34, v34, v1
	v_pk_mul_f16 v36, v36, v1
	;; [unrolled: 1-line block ×4, first 2 shown]
	v_exp_f32_e32 v1, v30
	v_cvt_i32_f32_e32 v2, v45
	v_ldexp_f32 v29, v29, v43
	v_cmp_ngt_f32_e32 vcc, s1, v3
	v_cndmask_b32_e32 v5, 0, v29, vcc
	v_cmp_nlt_f32_e32 vcc, s0, v3
	v_cndmask_b32_e32 v3, v23, v5, vcc
	v_ldexp_f32 v1, v1, v2
	v_cmp_ngt_f32_e32 vcc, s1, v11
	v_cndmask_b32_e32 v1, 0, v1, vcc
	v_cmp_nlt_f32_e32 vcc, s0, v11
	v_cndmask_b32_e32 v11, v23, v1, vcc
	v_fmac_f32_e32 v11, v7, v3
	v_cvt_f16_f32_e32 v1, v3
	v_max_f32_e32 v2, v12, v12
	v_max_f32_e32 v3, v4, v4
	;; [unrolled: 1-line block ×3, first 2 shown]
	v_sub_f32_e32 v2, v4, v22
	v_mul_f32_e32 v3, 0x3fb8aa3b, v2
	v_fma_f32 v4, v2, s6, -v3
	v_rndne_f32_e32 v5, v3
	v_fmac_f32_e32 v4, 0x32a5705f, v2
	v_sub_f32_e32 v3, v3, v5
	v_add_f32_e32 v3, v3, v4
	v_exp_f32_e32 v3, v3
	v_cvt_i32_f32_e32 v4, v5
	v_mul_u32_u24_e32 v1, 0x10001, v1
	v_pk_mul_f16 v18, v18, v1
	v_pk_mul_f16 v24, v24, v1
	v_ldexp_f32 v1, v3, v4
	v_sub_f32_e32 v3, v12, v22
	v_mul_f32_e32 v4, 0x3fb8aa3b, v3
	v_fma_f32 v5, v3, s6, -v4
	v_rndne_f32_e32 v6, v4
	v_fmac_f32_e32 v5, 0x32a5705f, v3
	v_sub_f32_e32 v4, v4, v6
	v_add_f32_e32 v4, v4, v5
	v_exp_f32_e32 v4, v4
	v_cvt_i32_f32_e32 v5, v6
	v_cmp_ngt_f32_e32 vcc, s1, v2
	v_cndmask_b32_e32 v1, 0, v1, vcc
	v_cmp_nlt_f32_e32 vcc, s0, v2
	v_cndmask_b32_e32 v1, v23, v1, vcc
	v_ldexp_f32 v2, v4, v5
	v_cvt_f16_f32_e32 v4, v1
	v_cmp_ngt_f32_e32 vcc, s1, v3
	v_cndmask_b32_e32 v2, 0, v2, vcc
	v_cmp_nlt_f32_e32 vcc, s0, v3
	v_cndmask_b32_e32 v12, v23, v2, vcc
	v_fmac_f32_e32 v12, v8, v1
	v_mul_u32_u24_e32 v1, 0x10001, v4
	v_pk_mul_f16 v17, v17, v1
	v_pk_mul_f16 v16, v16, v1
	v_mov_b32_e32 v1, v19
	v_mov_b32_e32 v2, v20
	;; [unrolled: 1-line block ×8, first 2 shown]
	v_cmp_gt_i32_e32 vcc, s2, v13
	s_and_saveexec_b64 s[0:1], vcc
	s_cbranch_execnz .LBB19_39
.LBB19_17:
	s_endpgm
.LBB19_18:
                                        ; implicit-def: $vgpr10
                                        ; implicit-def: $vgpr5
                                        ; implicit-def: $vgpr6
                                        ; implicit-def: $vgpr7
                                        ; implicit-def: $vgpr8
                                        ; implicit-def: $vgpr48
                                        ; implicit-def: $vgpr49
	v_lshlrev_b32_e32 v15, 2, v0
.LBB19_19:
	s_sub_i32 s0, 0, s36
	s_mul_i32 s0, s0, s24
	s_mul_hi_u32 s0, s24, s0
	s_abs_i32 s19, s29
	s_add_i32 s24, s24, s0
	s_mul_hi_u32 s34, s19, s24
	s_load_dwordx4 s[24:27], s[4:5], 0x98
	s_load_dword s14, s[4:5], 0x54
	s_load_dwordx2 s[0:1], s[4:5], 0x8c
	s_ashr_i32 s38, s29, 31
	s_ashr_i32 s37, s37, 31
	s_waitcnt lgkmcnt(0)
	s_ashr_i32 s15, s26, 2
	s_ashr_i32 s26, s35, 1
	;; [unrolled: 1-line block ×4, first 2 shown]
	s_mul_hi_u32 s35, s24, s33
	s_mul_i32 s39, s24, s0
	s_add_i32 s35, s35, s39
	s_mul_i32 s25, s25, s33
	s_add_i32 s35, s35, s25
	s_mul_i32 s24, s24, s33
	s_add_u32 s10, s10, s24
	s_mul_i32 s25, s34, s36
	s_addc_u32 s11, s11, s35
	s_sub_i32 s19, s19, s25
	s_xor_b32 s24, s38, s37
	s_add_i32 s25, s34, 1
	s_sub_i32 s35, s19, s36
	s_cmp_ge_u32 s19, s36
	s_cselect_b32 s25, s25, s34
	s_cselect_b32 s19, s35, s19
	s_add_i32 s34, s25, 1
	s_cmp_ge_u32 s19, s36
	s_cselect_b32 s19, s34, s25
	s_load_dwordx2 s[8:9], s[4:5], 0xa8
	s_xor_b32 s19, s19, s24
	v_lshrrev_b32_e32 v3, 3, v0
	s_sub_i32 s19, s19, s24
	v_add_u32_e32 v3, v3, v9
	s_mul_i32 s1, s19, s1
	v_mul_lo_u32 v5, s18, v3
	s_ashr_i32 s24, s1, 31
	s_add_u32 s1, s10, s1
	s_addc_u32 s10, s11, s24
	s_waitcnt lgkmcnt(0)
	s_mul_hi_u32 s11, s8, s33
	s_mul_i32 s0, s8, s0
	v_and_b32_e32 v6, 28, v15
	s_add_i32 s0, s11, s0
	s_mul_i32 s9, s9, s33
	v_mul_u32_u24_e32 v7, 0x90, v3
	v_lshlrev_b32_e32 v3, 2, v6
	v_ashrrev_i32_e32 v6, 31, v5
	s_add_i32 s0, s0, s9
	s_mul_i32 s8, s8, s33
	v_lshlrev_b64 v[5:6], 2, v[5:6]
	s_add_u32 s8, s12, s8
	s_mul_i32 s19, s19, s27
	s_movk_i32 s11, 0x3000
	s_addc_u32 s0, s13, s0
	s_ashr_i32 s9, s19, 31
	v_add3_u32 v19, v7, v3, s11
	v_mov_b32_e32 v7, s10
	v_add_co_u32_e32 v5, vcc, s1, v5
	s_add_u32 s8, s8, s19
	v_addc_co_u32_e32 v6, vcc, v7, v6, vcc
	s_addc_u32 s9, s0, s9
	s_movk_i32 s0, 0x90
	v_add_co_u32_e32 v20, vcc, v5, v3
	v_mov_b32_e32 v3, 0x3000
	v_mad_u32_u24 v22, v0, s0, v3
	v_mov_b32_e32 v3, 0x4200
	v_lshl_add_u32 v23, v1, 8, v3
	v_lshrrev_b32_e32 v3, 4, v0
	v_mad_u64_u32 v[9:10], s[0:1], v4, s26, v[0:1]
	v_lshl_add_u32 v1, v1, 1, v3
	v_mul_lo_u32 v3, s15, v1
	v_and_b32_e32 v4, 60, v15
	v_lshlrev_b32_e32 v5, 2, v4
	v_addc_co_u32_e32 v21, vcc, 0, v6, vcc
	v_ashrrev_i32_e32 v4, 31, v3
	v_lshlrev_b64 v[3:4], 2, v[3:4]
	v_lshl_or_b32 v1, v1, 8, v5
	v_add_u32_e32 v25, 0x3000, v1
	v_mov_b32_e32 v1, s9
	v_add_co_u32_e32 v3, vcc, s8, v3
	v_addc_co_u32_e32 v1, vcc, v1, v4, vcc
	v_add_co_u32_e32 v26, vcc, v3, v5
	s_add_u32 s0, s4, 0xd0
	v_mov_b32_e32 v42, 0
	v_addc_co_u32_e32 v28, vcc, 0, v1, vcc
	s_addc_u32 s1, s5, 0
	v_mov_b32_e32 v44, 0xfeffffff
	v_mov_b32_e32 v16, 0
	;; [unrolled: 1-line block ×3, first 2 shown]
	s_mov_b32 s10, 0x3f200000
	s_mov_b32 s11, 0x3fb8aa3b
	;; [unrolled: 1-line block ×4, first 2 shown]
	v_mov_b32_e32 v30, 0xbd5c1c4e
	v_mov_b32_e32 v31, 0x3e088382
	;; [unrolled: 1-line block ×3, first 2 shown]
	s_brev_b32 s19, -2
	s_mov_b32 s24, 0x10001
	v_mov_b32_e32 v33, 0x7f800000
	v_mbcnt_hi_u32_b32 v10, -1, v2
	v_mov_b32_e32 v17, 0
	v_mov_b32_e32 v24, 0
	;; [unrolled: 1-line block ×13, first 2 shown]
.LBB19_20:                              ; =>This Inner Loop Header: Depth=1
	s_mul_hi_i32 s9, s6, s18
	s_mul_i32 s8, s6, s18
	s_lshl_b64 s[8:9], s[8:9], 2
	v_mov_b32_e32 v2, s9
	v_add_co_u32_e32 v1, vcc, s8, v20
	v_addc_co_u32_e32 v2, vcc, v21, v2, vcc
	global_load_dwordx4 v[3:6], v[1:2], off
	v_mov_b32_e32 v48, 0
	v_mov_b32_e32 v47, 0
	;; [unrolled: 1-line block ×4, first 2 shown]
	s_waitcnt vmcnt(0)
	ds_write_b128 v19, v[3:6]
	s_waitcnt lgkmcnt(0)
	s_barrier
	ds_read_b128 v[3:6], v22
	ds_read_b128 v[49:52], v12
	ds_read_b128 v[53:56], v12 offset:384
	ds_read_b128 v[57:60], v12 offset:768
	ds_read_b128 v[61:64], v12 offset:1152
	s_waitcnt lgkmcnt(3)
	;;#ASMSTART
	v_dot2_f32_f16 v48, v3, v49, v48
	;;#ASMEND
	;;#ASMSTART
	v_dot2_f32_f16 v48, v4, v50, v48
	;;#ASMEND
	;;#ASMSTART
	v_dot2_f32_f16 v48, v5, v51, v48
	;;#ASMEND
	;;#ASMSTART
	v_dot2_f32_f16 v48, v6, v52, v48
	;;#ASMEND
	s_waitcnt lgkmcnt(2)
	;;#ASMSTART
	v_dot2_f32_f16 v47, v3, v53, v47
	;;#ASMEND
	;;#ASMSTART
	v_dot2_f32_f16 v47, v4, v54, v47
	;;#ASMEND
	;;#ASMSTART
	v_dot2_f32_f16 v47, v5, v55, v47
	;;#ASMEND
	;;#ASMSTART
	v_dot2_f32_f16 v47, v6, v56, v47
	;;#ASMEND
	s_waitcnt lgkmcnt(1)
	;;#ASMSTART
	v_dot2_f32_f16 v46, v3, v57, v46
	;;#ASMEND
	;;#ASMSTART
	v_dot2_f32_f16 v46, v4, v58, v46
	;;#ASMEND
	;;#ASMSTART
	v_dot2_f32_f16 v46, v5, v59, v46
	;;#ASMEND
	;;#ASMSTART
	v_dot2_f32_f16 v46, v6, v60, v46
	;;#ASMEND
	s_waitcnt lgkmcnt(0)
	;;#ASMSTART
	v_dot2_f32_f16 v45, v3, v61, v45
	;;#ASMEND
	;;#ASMSTART
	v_dot2_f32_f16 v45, v4, v62, v45
	;;#ASMEND
	;;#ASMSTART
	v_dot2_f32_f16 v45, v5, v63, v45
	;;#ASMEND
	;;#ASMSTART
	v_dot2_f32_f16 v45, v6, v64, v45
	;;#ASMEND
	ds_read_b128 v[3:6], v22 offset:16
	ds_read_b128 v[49:52], v12 offset:16
	ds_read_b128 v[53:56], v12 offset:400
	ds_read_b128 v[57:60], v12 offset:784
	ds_read_b128 v[61:64], v12 offset:1168
	s_waitcnt lgkmcnt(3)
	;;#ASMSTART
	v_dot2_f32_f16 v48, v3, v49, v48
	;;#ASMEND
	;;#ASMSTART
	v_dot2_f32_f16 v48, v4, v50, v48
	;;#ASMEND
	;;#ASMSTART
	v_dot2_f32_f16 v48, v5, v51, v48
	;;#ASMEND
	;;#ASMSTART
	v_dot2_f32_f16 v48, v6, v52, v48
	;;#ASMEND
	s_waitcnt lgkmcnt(2)
	;;#ASMSTART
	v_dot2_f32_f16 v47, v3, v53, v47
	;;#ASMEND
	;;#ASMSTART
	v_dot2_f32_f16 v47, v4, v54, v47
	;;#ASMEND
	;;#ASMSTART
	v_dot2_f32_f16 v47, v5, v55, v47
	;;#ASMEND
	;;#ASMSTART
	v_dot2_f32_f16 v47, v6, v56, v47
	;;#ASMEND
	s_waitcnt lgkmcnt(1)
	;;#ASMSTART
	v_dot2_f32_f16 v46, v3, v57, v46
	;;#ASMEND
	;;#ASMSTART
	v_dot2_f32_f16 v46, v4, v58, v46
	;;#ASMEND
	;;#ASMSTART
	v_dot2_f32_f16 v46, v5, v59, v46
	;;#ASMEND
	;;#ASMSTART
	v_dot2_f32_f16 v46, v6, v60, v46
	;;#ASMEND
	s_waitcnt lgkmcnt(0)
	;;#ASMSTART
	v_dot2_f32_f16 v45, v3, v61, v45
	;;#ASMEND
	;;#ASMSTART
	v_dot2_f32_f16 v45, v4, v62, v45
	;;#ASMEND
	;;#ASMSTART
	v_dot2_f32_f16 v45, v5, v63, v45
	;;#ASMEND
	;;#ASMSTART
	v_dot2_f32_f16 v45, v6, v64, v45
	;;#ASMEND
	ds_read_b128 v[3:6], v22 offset:32
	ds_read_b128 v[49:52], v12 offset:32
	;; [unrolled: 57-line block ×7, first 2 shown]
	ds_read_b128 v[53:56], v12 offset:496
	ds_read_b128 v[57:60], v12 offset:880
	;; [unrolled: 1-line block ×3, first 2 shown]
	s_waitcnt lgkmcnt(3)
	;;#ASMSTART
	v_dot2_f32_f16 v48, v3, v49, v48
	;;#ASMEND
	;;#ASMSTART
	v_dot2_f32_f16 v48, v4, v50, v48
	;;#ASMEND
	;;#ASMSTART
	v_dot2_f32_f16 v48, v5, v51, v48
	;;#ASMEND
	;;#ASMSTART
	v_dot2_f32_f16 v48, v6, v52, v48
	;;#ASMEND
	s_waitcnt lgkmcnt(2)
	;;#ASMSTART
	v_dot2_f32_f16 v47, v3, v53, v47
	;;#ASMEND
	;;#ASMSTART
	v_dot2_f32_f16 v47, v4, v54, v47
	;;#ASMEND
	;;#ASMSTART
	v_dot2_f32_f16 v47, v5, v55, v47
	;;#ASMEND
	;;#ASMSTART
	v_dot2_f32_f16 v47, v6, v56, v47
	;;#ASMEND
	;; [unrolled: 13-line block ×4, first 2 shown]
	s_barrier
	global_load_dwordx4 v[3:6], v[1:2], off offset:128
	s_waitcnt vmcnt(0)
	ds_write_b128 v19, v[3:6]
	s_waitcnt lgkmcnt(0)
	s_barrier
	ds_read_b128 v[3:6], v22
	ds_read_b128 v[49:52], v12 offset:128
	ds_read_b128 v[53:56], v12 offset:512
	ds_read_b128 v[57:60], v12 offset:896
	ds_read_b128 v[61:64], v12 offset:1280
	s_waitcnt lgkmcnt(3)
	;;#ASMSTART
	v_dot2_f32_f16 v48, v3, v49, v48
	;;#ASMEND
	;;#ASMSTART
	v_dot2_f32_f16 v48, v4, v50, v48
	;;#ASMEND
	;;#ASMSTART
	v_dot2_f32_f16 v48, v5, v51, v48
	;;#ASMEND
	;;#ASMSTART
	v_dot2_f32_f16 v48, v6, v52, v48
	;;#ASMEND
	s_waitcnt lgkmcnt(2)
	;;#ASMSTART
	v_dot2_f32_f16 v47, v3, v53, v47
	;;#ASMEND
	;;#ASMSTART
	v_dot2_f32_f16 v47, v4, v54, v47
	;;#ASMEND
	;;#ASMSTART
	v_dot2_f32_f16 v47, v5, v55, v47
	;;#ASMEND
	;;#ASMSTART
	v_dot2_f32_f16 v47, v6, v56, v47
	;;#ASMEND
	s_waitcnt lgkmcnt(1)
	;;#ASMSTART
	v_dot2_f32_f16 v46, v3, v57, v46
	;;#ASMEND
	;;#ASMSTART
	v_dot2_f32_f16 v46, v4, v58, v46
	;;#ASMEND
	;;#ASMSTART
	v_dot2_f32_f16 v46, v5, v59, v46
	;;#ASMEND
	;;#ASMSTART
	v_dot2_f32_f16 v46, v6, v60, v46
	;;#ASMEND
	s_waitcnt lgkmcnt(0)
	;;#ASMSTART
	v_dot2_f32_f16 v45, v3, v61, v45
	;;#ASMEND
	;;#ASMSTART
	v_dot2_f32_f16 v45, v4, v62, v45
	;;#ASMEND
	;;#ASMSTART
	v_dot2_f32_f16 v45, v5, v63, v45
	;;#ASMEND
	;;#ASMSTART
	v_dot2_f32_f16 v45, v6, v64, v45
	;;#ASMEND
	ds_read_b128 v[3:6], v22 offset:16
	ds_read_b128 v[49:52], v12 offset:144
	ds_read_b128 v[53:56], v12 offset:528
	ds_read_b128 v[57:60], v12 offset:912
	ds_read_b128 v[61:64], v12 offset:1296
	s_waitcnt lgkmcnt(3)
	;;#ASMSTART
	v_dot2_f32_f16 v48, v3, v49, v48
	;;#ASMEND
	;;#ASMSTART
	v_dot2_f32_f16 v48, v4, v50, v48
	;;#ASMEND
	;;#ASMSTART
	v_dot2_f32_f16 v48, v5, v51, v48
	;;#ASMEND
	;;#ASMSTART
	v_dot2_f32_f16 v48, v6, v52, v48
	;;#ASMEND
	s_waitcnt lgkmcnt(2)
	;;#ASMSTART
	v_dot2_f32_f16 v47, v3, v53, v47
	;;#ASMEND
	;;#ASMSTART
	v_dot2_f32_f16 v47, v4, v54, v47
	;;#ASMEND
	;;#ASMSTART
	v_dot2_f32_f16 v47, v5, v55, v47
	;;#ASMEND
	;;#ASMSTART
	v_dot2_f32_f16 v47, v6, v56, v47
	;;#ASMEND
	s_waitcnt lgkmcnt(1)
	;;#ASMSTART
	v_dot2_f32_f16 v46, v3, v57, v46
	;;#ASMEND
	;;#ASMSTART
	v_dot2_f32_f16 v46, v4, v58, v46
	;;#ASMEND
	;;#ASMSTART
	v_dot2_f32_f16 v46, v5, v59, v46
	;;#ASMEND
	;;#ASMSTART
	v_dot2_f32_f16 v46, v6, v60, v46
	;;#ASMEND
	s_waitcnt lgkmcnt(0)
	;;#ASMSTART
	v_dot2_f32_f16 v45, v3, v61, v45
	;;#ASMEND
	;;#ASMSTART
	v_dot2_f32_f16 v45, v4, v62, v45
	;;#ASMEND
	;;#ASMSTART
	v_dot2_f32_f16 v45, v5, v63, v45
	;;#ASMEND
	;;#ASMSTART
	v_dot2_f32_f16 v45, v6, v64, v45
	;;#ASMEND
	ds_read_b128 v[3:6], v22 offset:32
	;; [unrolled: 57-line block ×7, first 2 shown]
	ds_read_b128 v[49:52], v12 offset:240
	ds_read_b128 v[53:56], v12 offset:624
	;; [unrolled: 1-line block ×4, first 2 shown]
	s_waitcnt lgkmcnt(3)
	;;#ASMSTART
	v_dot2_f32_f16 v48, v3, v49, v48
	;;#ASMEND
	;;#ASMSTART
	v_dot2_f32_f16 v48, v4, v50, v48
	;;#ASMEND
	;;#ASMSTART
	v_dot2_f32_f16 v48, v5, v51, v48
	;;#ASMEND
	;;#ASMSTART
	v_dot2_f32_f16 v48, v6, v52, v48
	;;#ASMEND
	s_waitcnt lgkmcnt(2)
	;;#ASMSTART
	v_dot2_f32_f16 v47, v3, v53, v47
	;;#ASMEND
	;;#ASMSTART
	v_dot2_f32_f16 v47, v4, v54, v47
	;;#ASMEND
	;;#ASMSTART
	v_dot2_f32_f16 v47, v5, v55, v47
	;;#ASMEND
	;;#ASMSTART
	v_dot2_f32_f16 v47, v6, v56, v47
	;;#ASMEND
	s_waitcnt lgkmcnt(1)
	;;#ASMSTART
	v_dot2_f32_f16 v46, v3, v57, v46
	;;#ASMEND
	;;#ASMSTART
	v_dot2_f32_f16 v46, v4, v58, v46
	;;#ASMEND
	;;#ASMSTART
	v_dot2_f32_f16 v46, v5, v59, v46
	;;#ASMEND
	;;#ASMSTART
	v_dot2_f32_f16 v46, v6, v60, v46
	;;#ASMEND
	s_waitcnt lgkmcnt(0)
	;;#ASMSTART
	v_dot2_f32_f16 v45, v3, v61, v45
	;;#ASMEND
	;;#ASMSTART
	v_dot2_f32_f16 v45, v4, v62, v45
	;;#ASMEND
	;;#ASMSTART
	v_dot2_f32_f16 v45, v5, v63, v45
	;;#ASMEND
	;;#ASMSTART
	v_dot2_f32_f16 v45, v6, v64, v45
	;;#ASMEND
	s_barrier
	global_load_dwordx4 v[1:4], v[1:2], off offset:256
	v_add_u32_e32 v61, s6, v9
	v_ashrrev_i32_e32 v62, 31, v61
	v_lshlrev_b64 v[61:62], 1, v[61:62]
	v_add_co_u32_e32 v61, vcc, s30, v61
	v_addc_co_u32_e32 v62, vcc, v29, v62, vcc
	s_waitcnt vmcnt(0)
	ds_write_b128 v19, v[1:4]
	s_waitcnt lgkmcnt(0)
	s_barrier
	ds_read_b128 v[1:4], v22
	ds_read_b128 v[5:8], v12 offset:256
	ds_read_b128 v[49:52], v12 offset:640
	ds_read_b128 v[53:56], v12 offset:1024
	ds_read_b128 v[57:60], v12 offset:1408
	s_waitcnt lgkmcnt(3)
	;;#ASMSTART
	v_dot2_f32_f16 v48, v1, v5, v48
	;;#ASMEND
	;;#ASMSTART
	v_dot2_f32_f16 v48, v2, v6, v48
	;;#ASMEND
	;;#ASMSTART
	v_dot2_f32_f16 v48, v3, v7, v48
	;;#ASMEND
	;;#ASMSTART
	v_dot2_f32_f16 v48, v4, v8, v48
	;;#ASMEND
	s_waitcnt lgkmcnt(2)
	;;#ASMSTART
	v_dot2_f32_f16 v47, v1, v49, v47
	;;#ASMEND
	;;#ASMSTART
	v_dot2_f32_f16 v47, v2, v50, v47
	;;#ASMEND
	;;#ASMSTART
	v_dot2_f32_f16 v47, v3, v51, v47
	;;#ASMEND
	;;#ASMSTART
	v_dot2_f32_f16 v47, v4, v52, v47
	;;#ASMEND
	s_waitcnt lgkmcnt(1)
	;;#ASMSTART
	v_dot2_f32_f16 v46, v1, v53, v46
	;;#ASMEND
	;;#ASMSTART
	v_dot2_f32_f16 v46, v2, v54, v46
	;;#ASMEND
	;;#ASMSTART
	v_dot2_f32_f16 v46, v3, v55, v46
	;;#ASMEND
	;;#ASMSTART
	v_dot2_f32_f16 v46, v4, v56, v46
	;;#ASMEND
	s_waitcnt lgkmcnt(0)
	;;#ASMSTART
	v_dot2_f32_f16 v45, v1, v57, v45
	;;#ASMEND
	;;#ASMSTART
	v_dot2_f32_f16 v45, v2, v58, v45
	;;#ASMEND
	;;#ASMSTART
	v_dot2_f32_f16 v45, v3, v59, v45
	;;#ASMEND
	;;#ASMSTART
	v_dot2_f32_f16 v45, v4, v60, v45
	;;#ASMEND
	ds_read_b128 v[1:4], v22 offset:16
	ds_read_b128 v[5:8], v12 offset:272
	ds_read_b128 v[49:52], v12 offset:656
	ds_read_b128 v[53:56], v12 offset:1040
	ds_read_b128 v[57:60], v12 offset:1424
	s_waitcnt lgkmcnt(3)
	;;#ASMSTART
	v_dot2_f32_f16 v48, v1, v5, v48
	;;#ASMEND
	;;#ASMSTART
	v_dot2_f32_f16 v48, v2, v6, v48
	;;#ASMEND
	;;#ASMSTART
	v_dot2_f32_f16 v48, v3, v7, v48
	;;#ASMEND
	;;#ASMSTART
	v_dot2_f32_f16 v48, v4, v8, v48
	;;#ASMEND
	s_waitcnt lgkmcnt(2)
	;;#ASMSTART
	v_dot2_f32_f16 v47, v1, v49, v47
	;;#ASMEND
	;;#ASMSTART
	v_dot2_f32_f16 v47, v2, v50, v47
	;;#ASMEND
	;;#ASMSTART
	v_dot2_f32_f16 v47, v3, v51, v47
	;;#ASMEND
	;;#ASMSTART
	v_dot2_f32_f16 v47, v4, v52, v47
	;;#ASMEND
	s_waitcnt lgkmcnt(1)
	;;#ASMSTART
	v_dot2_f32_f16 v46, v1, v53, v46
	;;#ASMEND
	;;#ASMSTART
	v_dot2_f32_f16 v46, v2, v54, v46
	;;#ASMEND
	;;#ASMSTART
	v_dot2_f32_f16 v46, v3, v55, v46
	;;#ASMEND
	;;#ASMSTART
	v_dot2_f32_f16 v46, v4, v56, v46
	;;#ASMEND
	s_waitcnt lgkmcnt(0)
	;;#ASMSTART
	v_dot2_f32_f16 v45, v1, v57, v45
	;;#ASMEND
	;;#ASMSTART
	v_dot2_f32_f16 v45, v2, v58, v45
	;;#ASMEND
	;;#ASMSTART
	v_dot2_f32_f16 v45, v3, v59, v45
	;;#ASMEND
	;;#ASMSTART
	v_dot2_f32_f16 v45, v4, v60, v45
	;;#ASMEND
	ds_read_b128 v[1:4], v22 offset:32
	;; [unrolled: 57-line block ×7, first 2 shown]
	ds_read_b128 v[5:8], v12 offset:368
	ds_read_b128 v[49:52], v12 offset:752
	;; [unrolled: 1-line block ×4, first 2 shown]
	s_waitcnt lgkmcnt(3)
	;;#ASMSTART
	v_dot2_f32_f16 v48, v1, v5, v48
	;;#ASMEND
	;;#ASMSTART
	v_dot2_f32_f16 v48, v2, v6, v48
	;;#ASMEND
	;;#ASMSTART
	v_dot2_f32_f16 v48, v3, v7, v48
	;;#ASMEND
	;;#ASMSTART
	v_dot2_f32_f16 v48, v4, v8, v48
	;;#ASMEND
	s_waitcnt lgkmcnt(2)
	;;#ASMSTART
	v_dot2_f32_f16 v47, v1, v49, v47
	;;#ASMEND
	;;#ASMSTART
	v_dot2_f32_f16 v47, v2, v50, v47
	;;#ASMEND
	;;#ASMSTART
	v_dot2_f32_f16 v47, v3, v51, v47
	;;#ASMEND
	;;#ASMSTART
	v_dot2_f32_f16 v47, v4, v52, v47
	;;#ASMEND
	;; [unrolled: 13-line block ×4, first 2 shown]
	global_load_ushort v50, v[61:62], off
	v_cmp_nlt_f32_e64 s[8:9], |v48|, s10
                                        ; implicit-def: $vgpr2
	s_and_saveexec_b64 s[26:27], s[8:9]
	s_xor_b64 s[8:9], exec, s[26:27]
	s_cbranch_execz .LBB19_22
; %bb.21:                               ;   in Loop: Header=BB19_20 Depth=1
	v_add_f32_e64 v1, |v48|, |v48|
	v_mul_f32_e32 v2, 0x3fb8aa3b, v1
	v_rndne_f32_e32 v3, v2
	v_sub_f32_e32 v4, v2, v3
	v_fma_f32 v2, v1, s11, -v2
	v_fmac_f32_e32 v2, 0x32a5705f, v1
	v_add_f32_e32 v2, v4, v2
	v_cvt_i32_f32_e32 v3, v3
	v_exp_f32_e32 v2, v2
	v_cmp_ngt_f32_e32 vcc, s12, v1
	v_ldexp_f32 v2, v2, v3
	v_cndmask_b32_e32 v2, 0, v2, vcc
	v_cmp_nlt_f32_e32 vcc, s13, v1
	v_cndmask_b32_e32 v1, v33, v2, vcc
	v_add_f32_e32 v1, 1.0, v1
	v_rcp_f32_e32 v1, v1
	v_fma_f32 v2, v1, -2.0, 1.0
.LBB19_22:                              ;   in Loop: Header=BB19_20 Depth=1
	s_andn2_saveexec_b64 s[8:9], s[8:9]
; %bb.23:                               ;   in Loop: Header=BB19_20 Depth=1
	v_mul_f32_e32 v1, v48, v48
	v_mov_b32_e32 v2, 0x3ca908c9
	v_fmac_f32_e32 v2, 0xbbbac73d, v1
	v_fma_f32 v2, v1, v2, v30
	v_fma_f32 v2, v1, v2, v31
	;; [unrolled: 1-line block ×3, first 2 shown]
	v_mul_f32_e64 v2, |v48|, v2
	v_fma_f32 v2, v1, v2, |v48|
; %bb.24:                               ;   in Loop: Header=BB19_20 Depth=1
	s_or_b64 exec, exec, s[8:9]
	v_and_b32_e32 v1, 0x60, v10
	v_add_u32_e32 v5, 32, v1
	v_xor_b32_e32 v6, 16, v10
	v_bfi_b32 v2, s19, v2, v48
	v_cmp_lt_i32_e32 vcc, v6, v5
	s_waitcnt vmcnt(0)
	v_fma_mix_f32 v51, s14, v2, v50 op_sel_hi:[0,0,1]
	v_cndmask_b32_e32 v1, v10, v6, vcc
	v_add_f32_e32 v2, 0x40051340, v51
	v_max_f32_e32 v3, v44, v44
	v_lshlrev_b32_e32 v1, 2, v1
	v_max_f32_e32 v2, v3, v2
	ds_bpermute_b32 v4, v1, v2
	v_xor_b32_e32 v7, 8, v10
	v_cmp_lt_i32_e32 vcc, v7, v5
	v_cndmask_b32_e32 v3, v10, v7, vcc
	v_lshlrev_b32_e32 v3, 2, v3
	s_waitcnt lgkmcnt(0)
	v_max_f32_e32 v4, v4, v4
	v_max_f32_e32 v4, v2, v4
	ds_bpermute_b32 v48, v3, v4
	v_xor_b32_e32 v8, 4, v10
	v_cmp_lt_i32_e32 vcc, v8, v5
	v_cndmask_b32_e32 v2, v10, v8, vcc
	v_lshlrev_b32_e32 v2, 2, v2
	s_waitcnt lgkmcnt(0)
	v_max_f32_e32 v48, v48, v48
	;; [unrolled: 8-line block ×4, first 2 shown]
	v_max_f32_e32 v54, v52, v54
	ds_bpermute_b32 v55, v4, v54
	v_cmp_nlt_f32_e64 s[8:9], |v47|, s10
                                        ; implicit-def: $vgpr52
	s_and_saveexec_b64 s[26:27], s[8:9]
	s_xor_b64 s[8:9], exec, s[26:27]
	s_cbranch_execz .LBB19_26
; %bb.25:                               ;   in Loop: Header=BB19_20 Depth=1
	v_add_f32_e64 v52, |v47|, |v47|
	v_mul_f32_e32 v56, 0x3fb8aa3b, v52
	v_rndne_f32_e32 v57, v56
	v_sub_f32_e32 v58, v56, v57
	v_fma_f32 v56, v52, s11, -v56
	v_fmac_f32_e32 v56, 0x32a5705f, v52
	v_add_f32_e32 v56, v58, v56
	v_cvt_i32_f32_e32 v57, v57
	v_exp_f32_e32 v56, v56
	v_cmp_ngt_f32_e32 vcc, s12, v52
	v_ldexp_f32 v56, v56, v57
	v_cndmask_b32_e32 v56, 0, v56, vcc
	v_cmp_nlt_f32_e32 vcc, s13, v52
	v_cndmask_b32_e32 v52, v33, v56, vcc
	v_add_f32_e32 v52, 1.0, v52
	v_rcp_f32_e32 v52, v52
	v_fma_f32 v52, v52, -2.0, 1.0
.LBB19_26:                              ;   in Loop: Header=BB19_20 Depth=1
	s_andn2_saveexec_b64 s[8:9], s[8:9]
; %bb.27:                               ;   in Loop: Header=BB19_20 Depth=1
	v_mul_f32_e32 v52, v47, v47
	v_mov_b32_e32 v56, 0x3ca908c9
	v_fmac_f32_e32 v56, 0xbbbac73d, v52
	v_fma_f32 v56, v52, v56, v30
	v_fma_f32 v56, v52, v56, v31
	;; [unrolled: 1-line block ×3, first 2 shown]
	v_mul_f32_e64 v56, |v47|, v56
	v_fma_f32 v52, v52, v56, |v47|
; %bb.28:                               ;   in Loop: Header=BB19_20 Depth=1
	s_or_b64 exec, exec, s[8:9]
	v_cvt_f32_f16_e32 v50, v50
	v_bfi_b32 v47, s19, v52, v47
	v_max_f32_e32 v56, v43, v43
	v_cmp_nlt_f32_e64 s[8:9], |v46|, s10
	v_fma_f32 v52, s14, v47, v50
	v_add_f32_e32 v47, 0x40051340, v52
	v_max_f32_e32 v47, v56, v47
	ds_bpermute_b32 v56, v1, v47
	s_waitcnt lgkmcnt(0)
	v_max_f32_e32 v56, v56, v56
	v_max_f32_e32 v47, v47, v56
	ds_bpermute_b32 v56, v3, v47
	s_waitcnt lgkmcnt(0)
	v_max_f32_e32 v56, v56, v56
	v_max_f32_e32 v47, v47, v56
	ds_bpermute_b32 v56, v2, v47
	s_waitcnt lgkmcnt(0)
	v_max_f32_e32 v56, v56, v56
	v_max_f32_e32 v47, v47, v56
	ds_bpermute_b32 v56, v53, v47
	s_waitcnt lgkmcnt(0)
	v_max_f32_e32 v56, v56, v56
	v_max_f32_e32 v56, v47, v56
	ds_bpermute_b32 v57, v4, v56
                                        ; implicit-def: $vgpr47
	s_and_saveexec_b64 s[26:27], s[8:9]
	s_xor_b64 s[8:9], exec, s[26:27]
	s_cbranch_execz .LBB19_30
; %bb.29:                               ;   in Loop: Header=BB19_20 Depth=1
	v_add_f32_e64 v47, |v46|, |v46|
	v_mul_f32_e32 v58, 0x3fb8aa3b, v47
	v_rndne_f32_e32 v59, v58
	v_sub_f32_e32 v60, v58, v59
	v_fma_f32 v58, v47, s11, -v58
	v_fmac_f32_e32 v58, 0x32a5705f, v47
	v_add_f32_e32 v58, v60, v58
	v_cvt_i32_f32_e32 v59, v59
	v_exp_f32_e32 v58, v58
	v_cmp_ngt_f32_e32 vcc, s12, v47
	v_ldexp_f32 v58, v58, v59
	v_cndmask_b32_e32 v58, 0, v58, vcc
	v_cmp_nlt_f32_e32 vcc, s13, v47
	v_cndmask_b32_e32 v47, v33, v58, vcc
	v_add_f32_e32 v47, 1.0, v47
	v_rcp_f32_e32 v47, v47
	v_fma_f32 v47, v47, -2.0, 1.0
.LBB19_30:                              ;   in Loop: Header=BB19_20 Depth=1
	s_andn2_saveexec_b64 s[8:9], s[8:9]
; %bb.31:                               ;   in Loop: Header=BB19_20 Depth=1
	v_mul_f32_e32 v47, v46, v46
	v_mov_b32_e32 v58, 0x3ca908c9
	v_fmac_f32_e32 v58, 0xbbbac73d, v47
	v_fma_f32 v58, v47, v58, v30
	v_fma_f32 v58, v47, v58, v31
	;; [unrolled: 1-line block ×3, first 2 shown]
	v_mul_f32_e64 v58, |v46|, v58
	v_fma_f32 v47, v47, v58, |v46|
; %bb.32:                               ;   in Loop: Header=BB19_20 Depth=1
	s_or_b64 exec, exec, s[8:9]
	v_bfi_b32 v46, s19, v47, v46
	v_fma_f32 v47, s14, v46, v50
	v_add_f32_e32 v46, 0x40051340, v47
	v_max_f32_e32 v58, v41, v41
	v_max_f32_e32 v46, v58, v46
	ds_bpermute_b32 v58, v1, v46
	v_cmp_nlt_f32_e64 s[8:9], |v45|, s10
                                        ; implicit-def: $vgpr59
	s_waitcnt lgkmcnt(0)
	v_max_f32_e32 v58, v58, v58
	v_max_f32_e32 v46, v46, v58
	ds_bpermute_b32 v58, v3, v46
	s_waitcnt lgkmcnt(0)
	v_max_f32_e32 v58, v58, v58
	v_max_f32_e32 v46, v46, v58
	ds_bpermute_b32 v58, v2, v46
	;; [unrolled: 4-line block ×4, first 2 shown]
	s_and_saveexec_b64 s[26:27], s[8:9]
	s_xor_b64 s[8:9], exec, s[26:27]
	s_cbranch_execz .LBB19_34
; %bb.33:                               ;   in Loop: Header=BB19_20 Depth=1
	v_add_f32_e64 v59, |v45|, |v45|
	v_mul_f32_e32 v60, 0x3fb8aa3b, v59
	v_rndne_f32_e32 v61, v60
	v_sub_f32_e32 v62, v60, v61
	v_fma_f32 v60, v59, s11, -v60
	v_fmac_f32_e32 v60, 0x32a5705f, v59
	v_add_f32_e32 v60, v62, v60
	v_cvt_i32_f32_e32 v61, v61
	v_exp_f32_e32 v60, v60
	v_cmp_ngt_f32_e32 vcc, s12, v59
	v_ldexp_f32 v60, v60, v61
	v_cndmask_b32_e32 v60, 0, v60, vcc
	v_cmp_nlt_f32_e32 vcc, s13, v59
	v_cndmask_b32_e32 v59, v33, v60, vcc
	v_add_f32_e32 v59, 1.0, v59
	v_rcp_f32_e32 v59, v59
	v_fma_f32 v59, v59, -2.0, 1.0
.LBB19_34:                              ;   in Loop: Header=BB19_20 Depth=1
	s_andn2_saveexec_b64 s[8:9], s[8:9]
; %bb.35:                               ;   in Loop: Header=BB19_20 Depth=1
	v_mul_f32_e32 v59, v45, v45
	v_mov_b32_e32 v60, 0x3ca908c9
	v_fmac_f32_e32 v60, 0xbbbac73d, v59
	v_fma_f32 v60, v59, v60, v30
	v_fma_f32 v60, v59, v60, v31
	v_fma_f32 v60, v59, v60, v32
	v_mul_f32_e64 v60, |v45|, v60
	v_fma_f32 v59, v59, v60, |v45|
; %bb.36:                               ;   in Loop: Header=BB19_20 Depth=1
	s_or_b64 exec, exec, s[8:9]
	v_bfi_b32 v45, s19, v59, v45
	v_fmac_f32_e32 v50, s14, v45
	v_add_f32_e32 v45, 0x40051340, v50
	v_max_f32_e32 v59, v39, v39
	v_max_f32_e32 v45, v59, v45
	ds_bpermute_b32 v1, v1, v45
	v_max_f32_e32 v57, v57, v57
	s_waitcnt lgkmcnt(1)
	v_max_f32_e32 v58, v58, v58
	v_max_f32_e32 v46, v46, v46
	v_max_f32_e32 v55, v55, v55
	s_waitcnt lgkmcnt(0)
	v_max_f32_e32 v1, v1, v1
	v_max_f32_e32 v1, v45, v1
	ds_bpermute_b32 v3, v3, v1
	v_max_f32_e32 v45, v56, v56
	v_max_f32_e32 v54, v54, v54
	s_mul_hi_i32 s9, s6, s15
	s_mul_i32 s8, s6, s15
	s_waitcnt lgkmcnt(0)
	v_max_f32_e32 v3, v3, v3
	v_max_f32_e32 v56, v1, v3
	ds_bpermute_b32 v59, v2, v56
	v_max_f32_e32 v2, v45, v57
	v_max_f32_e32 v3, v46, v58
	;; [unrolled: 1-line block ×3, first 2 shown]
	v_sub_f32_e32 v44, v44, v1
	s_waitcnt lgkmcnt(0)
	v_max_f32_e32 v45, v59, v59
	v_max_f32_e32 v45, v56, v45
	ds_bpermute_b32 v46, v53, v45
	v_mul_f32_e32 v53, 0x3fb8aa3b, v44
	v_fma_f32 v54, v44, s11, -v53
	v_rndne_f32_e32 v55, v53
	v_fmac_f32_e32 v54, 0x32a5705f, v44
	s_waitcnt lgkmcnt(0)
	v_max_f32_e32 v46, v46, v46
	v_max_f32_e32 v45, v45, v46
	ds_bpermute_b32 v4, v4, v45
	v_sub_f32_e32 v46, v53, v55
	v_add_f32_e32 v46, v46, v54
	v_cvt_i32_f32_e32 v53, v55
	v_exp_f32_e32 v46, v46
	s_waitcnt lgkmcnt(0)
	v_max_f32_e32 v4, v4, v4
	v_max_f32_e32 v4, v45, v4
	v_cmp_ngt_f32_e32 vcc, s12, v44
	v_ldexp_f32 v45, v46, v53
	v_sub_f32_e32 v46, v51, v1
	v_mul_f32_e32 v51, 0x3fb8aa3b, v46
	v_fma_f32 v53, v46, s11, -v51
	v_rndne_f32_e32 v54, v51
	v_fmac_f32_e32 v53, 0x32a5705f, v46
	v_sub_f32_e32 v51, v51, v54
	v_add_f32_e32 v51, v51, v53
	v_exp_f32_e32 v51, v51
	v_cvt_i32_f32_e32 v53, v54
	v_cndmask_b32_e32 v45, 0, v45, vcc
	v_cmp_nlt_f32_e32 vcc, s13, v44
	v_sub_f32_e32 v43, v43, v2
	v_cndmask_b32_e32 v44, v33, v45, vcc
	v_ldexp_f32 v45, v51, v53
	v_mul_f32_e32 v51, 0x3fb8aa3b, v43
	v_cmp_ngt_f32_e32 vcc, s12, v46
	v_fma_f32 v53, v43, s11, -v51
	v_rndne_f32_e32 v54, v51
	v_cndmask_b32_e32 v45, 0, v45, vcc
	v_cmp_nlt_f32_e32 vcc, s13, v46
	v_cvt_f16_f32_e32 v46, v44
	v_fmac_f32_e32 v53, 0x32a5705f, v43
	v_sub_f32_e32 v51, v51, v54
	v_add_f32_e32 v51, v51, v53
	v_exp_f32_e32 v51, v51
	v_cvt_i32_f32_e32 v53, v54
	v_cndmask_b32_e32 v45, v33, v45, vcc
	v_cvt_f16_f32_e32 v55, v45
	v_fmac_f32_e32 v45, v42, v44
	v_mul_u32_u24_e32 v44, 0x10001, v46
	v_sub_f32_e32 v46, v52, v2
	v_mul_f32_e32 v42, 0x3fb8aa3b, v46
	v_pk_mul_f16 v63, v36, v44
	v_ldexp_f32 v36, v51, v53
	v_fma_f32 v51, v46, s11, -v42
	v_rndne_f32_e32 v52, v42
	v_fmac_f32_e32 v51, 0x32a5705f, v46
	v_sub_f32_e32 v42, v42, v52
	v_add_f32_e32 v42, v42, v51
	v_exp_f32_e32 v42, v42
	v_cvt_i32_f32_e32 v51, v52
	v_cmp_ngt_f32_e32 vcc, s12, v43
	v_cndmask_b32_e32 v36, 0, v36, vcc
	v_cmp_nlt_f32_e32 vcc, s13, v43
	s_lshl_b64 s[8:9], s[8:9], 2
	v_cndmask_b32_e32 v36, v33, v36, vcc
	v_ldexp_f32 v56, v42, v51
	v_mov_b32_e32 v43, s9
	v_add_co_u32_e32 v42, vcc, s8, v26
	v_addc_co_u32_e32 v43, vcc, v28, v43, vcc
	s_barrier
	global_load_dwordx4 v[51:54], v[42:43], off
	v_cmp_ngt_f32_e32 vcc, s12, v46
	v_sub_f32_e32 v41, v41, v3
	v_cndmask_b32_e32 v42, 0, v56, vcc
	v_mul_f32_e32 v56, 0x3fb8aa3b, v41
	v_fma_f32 v57, v41, s11, -v56
	v_rndne_f32_e32 v58, v56
	v_fmac_f32_e32 v57, 0x32a5705f, v41
	v_sub_f32_e32 v56, v56, v58
	v_cvt_f16_f32_e32 v43, v36
	v_add_f32_e32 v56, v56, v57
	v_cmp_nlt_f32_e32 vcc, s13, v46
	v_exp_f32_e32 v56, v56
	v_cvt_i32_f32_e32 v57, v58
	v_cndmask_b32_e32 v46, v33, v42, vcc
	v_cvt_f16_f32_e32 v42, v46
	v_fmac_f32_e32 v46, v40, v36
	v_sub_f32_e32 v36, v47, v3
	v_mul_u32_u24_e32 v43, 0x10001, v43
	v_mul_f32_e32 v40, 0x3fb8aa3b, v36
	v_pk_mul_f16 v64, v35, v43
	v_ldexp_f32 v35, v56, v57
	v_fma_f32 v47, v36, s11, -v40
	v_rndne_f32_e32 v56, v40
	v_fmac_f32_e32 v47, 0x32a5705f, v36
	v_sub_f32_e32 v40, v40, v56
	v_add_f32_e32 v40, v40, v47
	v_exp_f32_e32 v40, v40
	v_cvt_i32_f32_e32 v47, v56
	v_cmp_ngt_f32_e32 vcc, s12, v41
	v_sub_f32_e32 v39, v39, v4
	v_cndmask_b32_e32 v35, 0, v35, vcc
	v_cmp_nlt_f32_e32 vcc, s13, v41
	v_mul_f32_e32 v41, 0x3fb8aa3b, v39
	v_cndmask_b32_e32 v35, v33, v35, vcc
	v_ldexp_f32 v40, v40, v47
	v_cmp_ngt_f32_e32 vcc, s12, v36
	v_fma_f32 v56, v39, s11, -v41
	v_rndne_f32_e32 v57, v41
	v_cndmask_b32_e32 v40, 0, v40, vcc
	v_cmp_nlt_f32_e32 vcc, s13, v36
	v_fmac_f32_e32 v56, 0x32a5705f, v39
	v_sub_f32_e32 v41, v41, v57
	v_cndmask_b32_e32 v47, v33, v40, vcc
	v_cvt_f16_f32_e32 v40, v35
	v_add_f32_e32 v41, v41, v56
	v_exp_f32_e32 v41, v41
	v_cvt_i32_f32_e32 v56, v57
	v_cvt_f16_f32_e32 v36, v47
	v_fmac_f32_e32 v47, v38, v35
	v_sub_f32_e32 v38, v50, v4
	v_mul_u32_u24_e32 v65, 0x10001, v40
	v_mul_f32_e32 v40, 0x3fb8aa3b, v38
	v_ldexp_f32 v35, v41, v56
	v_fma_f32 v41, v38, s11, -v40
	v_rndne_f32_e32 v50, v40
	v_fmac_f32_e32 v41, 0x32a5705f, v38
	v_sub_f32_e32 v40, v40, v50
	v_add_f32_e32 v40, v40, v41
	v_exp_f32_e32 v40, v40
	v_cvt_i32_f32_e32 v41, v50
	v_cmp_ngt_f32_e32 vcc, s12, v39
	v_cndmask_b32_e32 v35, 0, v35, vcc
	v_cmp_nlt_f32_e32 vcc, s13, v39
	v_cndmask_b32_e32 v35, v33, v35, vcc
	v_ldexp_f32 v39, v40, v41
	v_cmp_ngt_f32_e32 vcc, s12, v38
	v_cndmask_b32_e32 v39, 0, v39, vcc
	v_cmp_nlt_f32_e32 vcc, s13, v38
	v_cvt_f16_f32_e32 v40, v35
	v_cndmask_b32_e32 v50, v33, v39, vcc
	v_cvt_f16_f32_e32 v38, v50
	v_fmac_f32_e32 v50, v37, v35
	v_mul_u32_u24_e32 v35, 0x10001, v40
	v_pk_mul_f16 v66, v17, v35
	v_pk_mul_f16 v67, v16, v35
	v_add_u32_e32 v35, v23, v11
	v_pack_b32_f16 v17, v36, v38
	v_pack_b32_f16 v16, v55, v42
	ds_write_b64 v35, v[16:17]
	s_waitcnt vmcnt(0)
	ds_write_b128 v25, v[51:54]
	s_waitcnt lgkmcnt(0)
	s_barrier
	v_add_u32_e32 v17, 0x3000, v11
	ds_read_b128 v[35:38], v23
	ds_read2_b64 v[39:42], v17 offset1:32
	ds_read_b128 v[51:54], v23 offset:16
	ds_read_b128 v[55:58], v23 offset:32
	;; [unrolled: 1-line block ×3, first 2 shown]
	s_waitcnt lgkmcnt(4)
	v_mul_u32_u24_sdwa v16, v35, s24 dst_sel:DWORD dst_unused:UNUSED_PAD src0_sel:WORD_0 src1_sel:DWORD
	v_mul_u32_u24_sdwa v35, v35, s24 dst_sel:DWORD dst_unused:UNUSED_PAD src0_sel:WORD_1 src1_sel:DWORD
	s_waitcnt lgkmcnt(3)
	v_pk_mul_f16 v69, v39, v16
	v_mul_u32_u24_sdwa v68, v36, s24 dst_sel:DWORD dst_unused:UNUSED_PAD src0_sel:WORD_0 src1_sel:DWORD
	v_pk_fma_f16 v34, v34, v44, v69
	v_pk_mul_f16 v44, v39, v35
	v_pk_mul_f16 v24, v24, v65
	v_mul_u32_u24_sdwa v36, v36, s24 dst_sel:DWORD dst_unused:UNUSED_PAD src0_sel:WORD_1 src1_sel:DWORD
	v_pk_fma_f16 v27, v27, v43, v44
	v_pk_mul_f16 v43, v39, v68
	v_pk_fma_f16 v18, v18, v65, v43
	v_pk_fma_f16 v39, v39, v36, v66
	;; [unrolled: 1-line block ×6, first 2 shown]
	v_mul_u32_u24_sdwa v40, v37, s24 dst_sel:DWORD dst_unused:UNUSED_PAD src0_sel:WORD_0 src1_sel:DWORD
	v_mul_u32_u24_sdwa v37, v37, s24 dst_sel:DWORD dst_unused:UNUSED_PAD src0_sel:WORD_1 src1_sel:DWORD
	v_mul_u32_u24_sdwa v43, v38, s24 dst_sel:DWORD dst_unused:UNUSED_PAD src0_sel:WORD_0 src1_sel:DWORD
	v_mul_u32_u24_sdwa v38, v38, s24 dst_sel:DWORD dst_unused:UNUSED_PAD src0_sel:WORD_1 src1_sel:DWORD
	v_pk_fma_f16 v44, v41, v40, v34
	v_pk_fma_f16 v27, v41, v37, v27
	;; [unrolled: 1-line block ×6, first 2 shown]
	ds_read2_b64 v[34:37], v17 offset0:64 offset1:96
	v_pk_fma_f16 v18, v41, v43, v18
	v_pk_fma_f16 v24, v42, v43, v24
	s_waitcnt lgkmcnt(3)
	v_mul_u32_u24_sdwa v41, v51, s24 dst_sel:DWORD dst_unused:UNUSED_PAD src0_sel:WORD_0 src1_sel:DWORD
	v_mul_u32_u24_sdwa v42, v51, s24 dst_sel:DWORD dst_unused:UNUSED_PAD src0_sel:WORD_1 src1_sel:DWORD
	v_mul_u32_u24_sdwa v43, v52, s24 dst_sel:DWORD dst_unused:UNUSED_PAD src0_sel:WORD_0 src1_sel:DWORD
	v_mul_u32_u24_sdwa v51, v52, s24 dst_sel:DWORD dst_unused:UNUSED_PAD src0_sel:WORD_1 src1_sel:DWORD
	s_waitcnt lgkmcnt(0)
	v_pk_fma_f16 v44, v34, v41, v44
	v_pk_fma_f16 v27, v34, v42, v27
	;; [unrolled: 1-line block ×8, first 2 shown]
	v_mul_u32_u24_sdwa v38, v53, s24 dst_sel:DWORD dst_unused:UNUSED_PAD src0_sel:WORD_0 src1_sel:DWORD
	v_mul_u32_u24_sdwa v40, v53, s24 dst_sel:DWORD dst_unused:UNUSED_PAD src0_sel:WORD_1 src1_sel:DWORD
	v_mul_u32_u24_sdwa v41, v54, s24 dst_sel:DWORD dst_unused:UNUSED_PAD src0_sel:WORD_0 src1_sel:DWORD
	v_mul_u32_u24_sdwa v42, v54, s24 dst_sel:DWORD dst_unused:UNUSED_PAD src0_sel:WORD_1 src1_sel:DWORD
	v_pk_fma_f16 v43, v36, v38, v44
	v_pk_fma_f16 v27, v36, v40, v27
	;; [unrolled: 1-line block ×8, first 2 shown]
	ds_read2_b64 v[34:37], v17 offset0:128 offset1:160
	v_mul_u32_u24_sdwa v40, v55, s24 dst_sel:DWORD dst_unused:UNUSED_PAD src0_sel:WORD_0 src1_sel:DWORD
	v_mul_u32_u24_sdwa v41, v55, s24 dst_sel:DWORD dst_unused:UNUSED_PAD src0_sel:WORD_1 src1_sel:DWORD
	v_mul_u32_u24_sdwa v42, v56, s24 dst_sel:DWORD dst_unused:UNUSED_PAD src0_sel:WORD_0 src1_sel:DWORD
	v_mul_u32_u24_sdwa v51, v56, s24 dst_sel:DWORD dst_unused:UNUSED_PAD src0_sel:WORD_1 src1_sel:DWORD
	s_waitcnt lgkmcnt(0)
	v_pk_fma_f16 v43, v34, v40, v43
	v_pk_fma_f16 v27, v34, v41, v27
	;; [unrolled: 1-line block ×8, first 2 shown]
	v_mul_u32_u24_sdwa v39, v57, s24 dst_sel:DWORD dst_unused:UNUSED_PAD src0_sel:WORD_0 src1_sel:DWORD
	v_mul_u32_u24_sdwa v40, v57, s24 dst_sel:DWORD dst_unused:UNUSED_PAD src0_sel:WORD_1 src1_sel:DWORD
	v_mul_u32_u24_sdwa v41, v58, s24 dst_sel:DWORD dst_unused:UNUSED_PAD src0_sel:WORD_0 src1_sel:DWORD
	v_mul_u32_u24_sdwa v42, v58, s24 dst_sel:DWORD dst_unused:UNUSED_PAD src0_sel:WORD_1 src1_sel:DWORD
	v_pk_fma_f16 v43, v36, v39, v43
	v_pk_fma_f16 v27, v36, v40, v27
	;; [unrolled: 1-line block ×8, first 2 shown]
	ds_read2_b64 v[34:37], v17 offset0:192 offset1:224
	v_mul_u32_u24_sdwa v40, v59, s24 dst_sel:DWORD dst_unused:UNUSED_PAD src0_sel:WORD_0 src1_sel:DWORD
	v_mul_u32_u24_sdwa v41, v59, s24 dst_sel:DWORD dst_unused:UNUSED_PAD src0_sel:WORD_1 src1_sel:DWORD
	v_mul_u32_u24_sdwa v42, v60, s24 dst_sel:DWORD dst_unused:UNUSED_PAD src0_sel:WORD_0 src1_sel:DWORD
	v_mul_u32_u24_sdwa v51, v60, s24 dst_sel:DWORD dst_unused:UNUSED_PAD src0_sel:WORD_1 src1_sel:DWORD
	s_waitcnt lgkmcnt(0)
	v_pk_fma_f16 v43, v34, v40, v43
	v_pk_fma_f16 v27, v34, v41, v27
	;; [unrolled: 1-line block ×7, first 2 shown]
	v_mul_u32_u24_sdwa v39, v61, s24 dst_sel:DWORD dst_unused:UNUSED_PAD src0_sel:WORD_0 src1_sel:DWORD
	v_mul_u32_u24_sdwa v40, v61, s24 dst_sel:DWORD dst_unused:UNUSED_PAD src0_sel:WORD_1 src1_sel:DWORD
	v_mul_u32_u24_sdwa v41, v62, s24 dst_sel:DWORD dst_unused:UNUSED_PAD src0_sel:WORD_0 src1_sel:DWORD
	v_pk_fma_f16 v43, v36, v39, v43
	v_pk_fma_f16 v27, v36, v40, v27
	;; [unrolled: 1-line block ×6, first 2 shown]
	ds_read_b128 v[38:41], v23 offset:64
	v_pk_fma_f16 v34, v34, v51, v44
	v_mul_u32_u24_sdwa v42, v62, s24 dst_sel:DWORD dst_unused:UNUSED_PAD src0_sel:WORD_1 src1_sel:DWORD
	v_add_u32_e32 v16, 0x3800, v11
	v_pk_fma_f16 v44, v36, v42, v34
	v_pk_fma_f16 v42, v37, v42, v35
	ds_read2_b64 v[34:37], v16 offset1:32
	ds_read_b128 v[51:54], v23 offset:80
	s_or_b32 s8, s6, 16
	s_mul_hi_i32 s9, s8, s15
	s_mul_i32 s8, s8, s15
	s_waitcnt lgkmcnt(2)
	v_mul_u32_u24_sdwa v57, v38, s24 dst_sel:DWORD dst_unused:UNUSED_PAD src0_sel:WORD_0 src1_sel:DWORD
	v_mul_u32_u24_sdwa v38, v38, s24 dst_sel:DWORD dst_unused:UNUSED_PAD src0_sel:WORD_1 src1_sel:DWORD
	v_mul_u32_u24_sdwa v58, v39, s24 dst_sel:DWORD dst_unused:UNUSED_PAD src0_sel:WORD_0 src1_sel:DWORD
	v_mul_u32_u24_sdwa v39, v39, s24 dst_sel:DWORD dst_unused:UNUSED_PAD src0_sel:WORD_1 src1_sel:DWORD
	s_lshl_b64 s[8:9], s[8:9], 2
	s_waitcnt lgkmcnt(1)
	v_pk_fma_f16 v43, v34, v57, v43
	v_pk_fma_f16 v27, v34, v38, v27
	;; [unrolled: 1-line block ×8, first 2 shown]
	v_mov_b32_e32 v35, s9
	v_add_co_u32_e32 v34, vcc, s8, v26
	v_addc_co_u32_e32 v35, vcc, v28, v35, vcc
	v_mul_u32_u24_sdwa v77, v40, s24 dst_sel:DWORD dst_unused:UNUSED_PAD src0_sel:WORD_0 src1_sel:DWORD
	v_mul_u32_u24_sdwa v78, v40, s24 dst_sel:DWORD dst_unused:UNUSED_PAD src0_sel:WORD_1 src1_sel:DWORD
	v_mul_u32_u24_sdwa v79, v41, s24 dst_sel:DWORD dst_unused:UNUSED_PAD src0_sel:WORD_0 src1_sel:DWORD
	v_mul_u32_u24_sdwa v80, v41, s24 dst_sel:DWORD dst_unused:UNUSED_PAD src0_sel:WORD_1 src1_sel:DWORD
	ds_read2_b64 v[38:41], v16 offset0:64 offset1:96
	ds_read2_b64 v[55:58], v16 offset0:128 offset1:160
	;; [unrolled: 1-line block ×3, first 2 shown]
	ds_read_b128 v[63:66], v23 offset:96
	ds_read_b128 v[67:70], v23 offset:112
	s_waitcnt lgkmcnt(0)
	s_barrier
	global_load_dwordx4 v[71:74], v[34:35], off
	v_pk_fma_f16 v43, v36, v77, v43
	v_pk_fma_f16 v27, v36, v78, v27
	v_pk_fma_f16 v18, v36, v79, v18
	v_pk_fma_f16 v34, v36, v80, v44
	v_pk_fma_f16 v35, v37, v77, v75
	v_pk_fma_f16 v36, v37, v78, v76
	v_pk_fma_f16 v24, v37, v79, v24
	v_pk_fma_f16 v37, v37, v80, v42
	v_mul_u32_u24_sdwa v42, v51, s24 dst_sel:DWORD dst_unused:UNUSED_PAD src0_sel:WORD_0 src1_sel:DWORD
	v_mul_u32_u24_sdwa v44, v51, s24 dst_sel:DWORD dst_unused:UNUSED_PAD src0_sel:WORD_1 src1_sel:DWORD
	v_mul_u32_u24_sdwa v51, v52, s24 dst_sel:DWORD dst_unused:UNUSED_PAD src0_sel:WORD_0 src1_sel:DWORD
	v_mul_u32_u24_sdwa v52, v52, s24 dst_sel:DWORD dst_unused:UNUSED_PAD src0_sel:WORD_1 src1_sel:DWORD
	v_pk_fma_f16 v43, v38, v42, v43
	v_pk_fma_f16 v27, v38, v44, v27
	v_pk_fma_f16 v18, v38, v51, v18
	v_pk_fma_f16 v34, v38, v52, v34
	v_pk_fma_f16 v35, v39, v42, v35
	v_pk_fma_f16 v36, v39, v44, v36
	v_pk_fma_f16 v24, v39, v51, v24
	v_pk_fma_f16 v37, v39, v52, v37
	v_mul_u32_u24_sdwa v38, v53, s24 dst_sel:DWORD dst_unused:UNUSED_PAD src0_sel:WORD_0 src1_sel:DWORD
	v_mul_u32_u24_sdwa v39, v53, s24 dst_sel:DWORD dst_unused:UNUSED_PAD src0_sel:WORD_1 src1_sel:DWORD
	v_mul_u32_u24_sdwa v42, v54, s24 dst_sel:DWORD dst_unused:UNUSED_PAD src0_sel:WORD_0 src1_sel:DWORD
	v_mul_u32_u24_sdwa v44, v54, s24 dst_sel:DWORD dst_unused:UNUSED_PAD src0_sel:WORD_1 src1_sel:DWORD
	;; [unrolled: 12-line block ×6, first 2 shown]
	v_pk_fma_f16 v42, v61, v38, v42
	v_pk_fma_f16 v27, v61, v39, v27
	;; [unrolled: 1-line block ×8, first 2 shown]
	s_waitcnt vmcnt(0)
	ds_write_b128 v25, v[71:74]
	s_waitcnt lgkmcnt(0)
	s_barrier
	ds_read_b128 v[34:37], v23 offset:128
	ds_read2_b64 v[38:41], v17 offset1:32
	ds_read_b128 v[51:54], v23 offset:144
	ds_read_b128 v[55:58], v23 offset:160
	;; [unrolled: 1-line block ×3, first 2 shown]
	s_waitcnt lgkmcnt(4)
	v_mul_u32_u24_sdwa v65, v34, s24 dst_sel:DWORD dst_unused:UNUSED_PAD src0_sel:WORD_0 src1_sel:DWORD
	v_mul_u32_u24_sdwa v34, v34, s24 dst_sel:DWORD dst_unused:UNUSED_PAD src0_sel:WORD_1 src1_sel:DWORD
	v_mul_u32_u24_sdwa v66, v35, s24 dst_sel:DWORD dst_unused:UNUSED_PAD src0_sel:WORD_0 src1_sel:DWORD
	v_mul_u32_u24_sdwa v35, v35, s24 dst_sel:DWORD dst_unused:UNUSED_PAD src0_sel:WORD_1 src1_sel:DWORD
	s_waitcnt lgkmcnt(3)
	v_pk_fma_f16 v42, v38, v65, v42
	v_pk_fma_f16 v27, v38, v34, v27
	;; [unrolled: 1-line block ×8, first 2 shown]
	v_mul_u32_u24_sdwa v39, v36, s24 dst_sel:DWORD dst_unused:UNUSED_PAD src0_sel:WORD_0 src1_sel:DWORD
	v_mul_u32_u24_sdwa v36, v36, s24 dst_sel:DWORD dst_unused:UNUSED_PAD src0_sel:WORD_1 src1_sel:DWORD
	v_mul_u32_u24_sdwa v44, v37, s24 dst_sel:DWORD dst_unused:UNUSED_PAD src0_sel:WORD_0 src1_sel:DWORD
	v_mul_u32_u24_sdwa v37, v37, s24 dst_sel:DWORD dst_unused:UNUSED_PAD src0_sel:WORD_1 src1_sel:DWORD
	v_pk_fma_f16 v42, v40, v39, v42
	v_pk_fma_f16 v27, v40, v36, v27
	;; [unrolled: 1-line block ×8, first 2 shown]
	ds_read2_b64 v[34:37], v17 offset0:64 offset1:96
	s_waitcnt lgkmcnt(3)
	v_mul_u32_u24_sdwa v43, v51, s24 dst_sel:DWORD dst_unused:UNUSED_PAD src0_sel:WORD_0 src1_sel:DWORD
	v_mul_u32_u24_sdwa v44, v51, s24 dst_sel:DWORD dst_unused:UNUSED_PAD src0_sel:WORD_1 src1_sel:DWORD
	v_mul_u32_u24_sdwa v51, v52, s24 dst_sel:DWORD dst_unused:UNUSED_PAD src0_sel:WORD_0 src1_sel:DWORD
	v_mul_u32_u24_sdwa v52, v52, s24 dst_sel:DWORD dst_unused:UNUSED_PAD src0_sel:WORD_1 src1_sel:DWORD
	s_waitcnt lgkmcnt(0)
	v_pk_fma_f16 v42, v34, v43, v42
	v_pk_fma_f16 v27, v34, v44, v27
	;; [unrolled: 1-line block ×8, first 2 shown]
	v_mul_u32_u24_sdwa v40, v53, s24 dst_sel:DWORD dst_unused:UNUSED_PAD src0_sel:WORD_0 src1_sel:DWORD
	v_mul_u32_u24_sdwa v41, v53, s24 dst_sel:DWORD dst_unused:UNUSED_PAD src0_sel:WORD_1 src1_sel:DWORD
	v_mul_u32_u24_sdwa v43, v54, s24 dst_sel:DWORD dst_unused:UNUSED_PAD src0_sel:WORD_0 src1_sel:DWORD
	v_mul_u32_u24_sdwa v44, v54, s24 dst_sel:DWORD dst_unused:UNUSED_PAD src0_sel:WORD_1 src1_sel:DWORD
	v_pk_fma_f16 v42, v36, v40, v42
	v_pk_fma_f16 v27, v36, v41, v27
	;; [unrolled: 1-line block ×8, first 2 shown]
	ds_read2_b64 v[34:37], v17 offset0:128 offset1:160
	v_mul_u32_u24_sdwa v41, v55, s24 dst_sel:DWORD dst_unused:UNUSED_PAD src0_sel:WORD_0 src1_sel:DWORD
	v_mul_u32_u24_sdwa v43, v55, s24 dst_sel:DWORD dst_unused:UNUSED_PAD src0_sel:WORD_1 src1_sel:DWORD
	v_mul_u32_u24_sdwa v44, v56, s24 dst_sel:DWORD dst_unused:UNUSED_PAD src0_sel:WORD_0 src1_sel:DWORD
	v_mul_u32_u24_sdwa v52, v56, s24 dst_sel:DWORD dst_unused:UNUSED_PAD src0_sel:WORD_1 src1_sel:DWORD
	s_waitcnt lgkmcnt(0)
	v_pk_fma_f16 v42, v34, v41, v42
	v_pk_fma_f16 v27, v34, v43, v27
	;; [unrolled: 1-line block ×8, first 2 shown]
	v_mul_u32_u24_sdwa v40, v57, s24 dst_sel:DWORD dst_unused:UNUSED_PAD src0_sel:WORD_0 src1_sel:DWORD
	v_mul_u32_u24_sdwa v41, v57, s24 dst_sel:DWORD dst_unused:UNUSED_PAD src0_sel:WORD_1 src1_sel:DWORD
	v_mul_u32_u24_sdwa v43, v58, s24 dst_sel:DWORD dst_unused:UNUSED_PAD src0_sel:WORD_0 src1_sel:DWORD
	v_mul_u32_u24_sdwa v44, v58, s24 dst_sel:DWORD dst_unused:UNUSED_PAD src0_sel:WORD_1 src1_sel:DWORD
	v_pk_fma_f16 v42, v36, v40, v42
	v_pk_fma_f16 v27, v36, v41, v27
	;; [unrolled: 1-line block ×8, first 2 shown]
	ds_read2_b64 v[34:37], v17 offset0:192 offset1:224
	v_mul_u32_u24_sdwa v17, v59, s24 dst_sel:DWORD dst_unused:UNUSED_PAD src0_sel:WORD_0 src1_sel:DWORD
	v_mul_u32_u24_sdwa v41, v59, s24 dst_sel:DWORD dst_unused:UNUSED_PAD src0_sel:WORD_1 src1_sel:DWORD
	v_mul_u32_u24_sdwa v43, v60, s24 dst_sel:DWORD dst_unused:UNUSED_PAD src0_sel:WORD_0 src1_sel:DWORD
	v_mul_u32_u24_sdwa v44, v60, s24 dst_sel:DWORD dst_unused:UNUSED_PAD src0_sel:WORD_1 src1_sel:DWORD
	s_waitcnt lgkmcnt(0)
	v_pk_fma_f16 v42, v34, v17, v42
	v_pk_fma_f16 v27, v34, v41, v27
	;; [unrolled: 1-line block ×6, first 2 shown]
	v_mul_u32_u24_sdwa v39, v61, s24 dst_sel:DWORD dst_unused:UNUSED_PAD src0_sel:WORD_0 src1_sel:DWORD
	v_mul_u32_u24_sdwa v40, v61, s24 dst_sel:DWORD dst_unused:UNUSED_PAD src0_sel:WORD_1 src1_sel:DWORD
	v_pk_fma_f16 v42, v36, v39, v42
	v_pk_fma_f16 v27, v36, v40, v27
	;; [unrolled: 1-line block ×4, first 2 shown]
	ds_read_b128 v[38:41], v23 offset:192
	v_pk_fma_f16 v18, v34, v43, v18
	v_pk_fma_f16 v34, v34, v44, v51
	v_mul_u32_u24_sdwa v43, v62, s24 dst_sel:DWORD dst_unused:UNUSED_PAD src0_sel:WORD_0 src1_sel:DWORD
	v_mul_u32_u24_sdwa v44, v62, s24 dst_sel:DWORD dst_unused:UNUSED_PAD src0_sel:WORD_1 src1_sel:DWORD
	v_pk_fma_f16 v18, v36, v43, v18
	v_pk_fma_f16 v55, v36, v44, v34
	;; [unrolled: 1-line block ×4, first 2 shown]
	ds_read2_b64 v[34:37], v16 offset1:32
	ds_read_b128 v[51:54], v23 offset:208
	s_waitcnt lgkmcnt(2)
	v_mul_u32_u24_sdwa v44, v38, s24 dst_sel:DWORD dst_unused:UNUSED_PAD src0_sel:WORD_0 src1_sel:DWORD
	v_mul_u32_u24_sdwa v38, v38, s24 dst_sel:DWORD dst_unused:UNUSED_PAD src0_sel:WORD_1 src1_sel:DWORD
	v_mul_u32_u24_sdwa v57, v39, s24 dst_sel:DWORD dst_unused:UNUSED_PAD src0_sel:WORD_0 src1_sel:DWORD
	v_mul_u32_u24_sdwa v39, v39, s24 dst_sel:DWORD dst_unused:UNUSED_PAD src0_sel:WORD_1 src1_sel:DWORD
	s_waitcnt lgkmcnt(1)
	v_pk_fma_f16 v42, v34, v44, v42
	v_pk_fma_f16 v27, v34, v38, v27
	;; [unrolled: 1-line block ×8, first 2 shown]
	v_mul_u32_u24_sdwa v39, v40, s24 dst_sel:DWORD dst_unused:UNUSED_PAD src0_sel:WORD_0 src1_sel:DWORD
	v_mul_u32_u24_sdwa v40, v40, s24 dst_sel:DWORD dst_unused:UNUSED_PAD src0_sel:WORD_1 src1_sel:DWORD
	v_mul_u32_u24_sdwa v43, v41, s24 dst_sel:DWORD dst_unused:UNUSED_PAD src0_sel:WORD_0 src1_sel:DWORD
	v_mul_u32_u24_sdwa v41, v41, s24 dst_sel:DWORD dst_unused:UNUSED_PAD src0_sel:WORD_1 src1_sel:DWORD
	v_pk_fma_f16 v42, v36, v39, v42
	v_pk_fma_f16 v27, v36, v40, v27
	;; [unrolled: 1-line block ×8, first 2 shown]
	ds_read2_b64 v[34:37], v16 offset0:64 offset1:96
	s_waitcnt lgkmcnt(1)
	v_mul_u32_u24_sdwa v40, v51, s24 dst_sel:DWORD dst_unused:UNUSED_PAD src0_sel:WORD_0 src1_sel:DWORD
	v_mul_u32_u24_sdwa v41, v51, s24 dst_sel:DWORD dst_unused:UNUSED_PAD src0_sel:WORD_1 src1_sel:DWORD
	v_mul_u32_u24_sdwa v43, v52, s24 dst_sel:DWORD dst_unused:UNUSED_PAD src0_sel:WORD_0 src1_sel:DWORD
	v_mul_u32_u24_sdwa v51, v52, s24 dst_sel:DWORD dst_unused:UNUSED_PAD src0_sel:WORD_1 src1_sel:DWORD
	s_waitcnt lgkmcnt(0)
	v_pk_fma_f16 v42, v34, v40, v42
	v_pk_fma_f16 v27, v34, v41, v27
	;; [unrolled: 1-line block ×6, first 2 shown]
	v_mul_u32_u24_sdwa v39, v53, s24 dst_sel:DWORD dst_unused:UNUSED_PAD src0_sel:WORD_0 src1_sel:DWORD
	v_mul_u32_u24_sdwa v40, v53, s24 dst_sel:DWORD dst_unused:UNUSED_PAD src0_sel:WORD_1 src1_sel:DWORD
	v_pk_fma_f16 v42, v36, v39, v42
	v_pk_fma_f16 v27, v36, v40, v27
	;; [unrolled: 1-line block ×4, first 2 shown]
	ds_read_b128 v[38:41], v23 offset:224
	v_pk_fma_f16 v18, v34, v43, v18
	v_pk_fma_f16 v34, v34, v51, v44
	v_mul_u32_u24_sdwa v43, v54, s24 dst_sel:DWORD dst_unused:UNUSED_PAD src0_sel:WORD_0 src1_sel:DWORD
	v_mul_u32_u24_sdwa v44, v54, s24 dst_sel:DWORD dst_unused:UNUSED_PAD src0_sel:WORD_1 src1_sel:DWORD
	v_pk_fma_f16 v18, v36, v43, v18
	v_pk_fma_f16 v55, v36, v44, v34
	;; [unrolled: 1-line block ×4, first 2 shown]
	ds_read2_b64 v[34:37], v16 offset0:128 offset1:160
	ds_read_b128 v[51:54], v23 offset:240
	s_waitcnt lgkmcnt(2)
	v_mul_u32_u24_sdwa v44, v38, s24 dst_sel:DWORD dst_unused:UNUSED_PAD src0_sel:WORD_0 src1_sel:DWORD
	v_mul_u32_u24_sdwa v38, v38, s24 dst_sel:DWORD dst_unused:UNUSED_PAD src0_sel:WORD_1 src1_sel:DWORD
	v_mul_u32_u24_sdwa v57, v39, s24 dst_sel:DWORD dst_unused:UNUSED_PAD src0_sel:WORD_0 src1_sel:DWORD
	v_mul_u32_u24_sdwa v39, v39, s24 dst_sel:DWORD dst_unused:UNUSED_PAD src0_sel:WORD_1 src1_sel:DWORD
	s_waitcnt lgkmcnt(1)
	v_pk_fma_f16 v42, v34, v44, v42
	v_pk_fma_f16 v27, v34, v38, v27
	;; [unrolled: 1-line block ×8, first 2 shown]
	v_mul_u32_u24_sdwa v39, v40, s24 dst_sel:DWORD dst_unused:UNUSED_PAD src0_sel:WORD_0 src1_sel:DWORD
	v_mul_u32_u24_sdwa v40, v40, s24 dst_sel:DWORD dst_unused:UNUSED_PAD src0_sel:WORD_1 src1_sel:DWORD
	v_mul_u32_u24_sdwa v43, v41, s24 dst_sel:DWORD dst_unused:UNUSED_PAD src0_sel:WORD_0 src1_sel:DWORD
	v_mul_u32_u24_sdwa v41, v41, s24 dst_sel:DWORD dst_unused:UNUSED_PAD src0_sel:WORD_1 src1_sel:DWORD
	v_pk_fma_f16 v42, v36, v39, v42
	v_pk_fma_f16 v27, v36, v40, v27
	;; [unrolled: 1-line block ×8, first 2 shown]
	ds_read2_b64 v[34:37], v16 offset0:192 offset1:224
	s_waitcnt lgkmcnt(0)
	s_barrier
	s_load_dword s8, s[0:1], 0x4
	v_mul_u32_u24_sdwa v16, v51, s24 dst_sel:DWORD dst_unused:UNUSED_PAD src0_sel:WORD_0 src1_sel:DWORD
	v_mul_u32_u24_sdwa v40, v51, s24 dst_sel:DWORD dst_unused:UNUSED_PAD src0_sel:WORD_1 src1_sel:DWORD
	v_mul_u32_u24_sdwa v41, v52, s24 dst_sel:DWORD dst_unused:UNUSED_PAD src0_sel:WORD_0 src1_sel:DWORD
	v_mul_u32_u24_sdwa v43, v52, s24 dst_sel:DWORD dst_unused:UNUSED_PAD src0_sel:WORD_1 src1_sel:DWORD
	s_waitcnt lgkmcnt(0)
	s_lshl_b32 s8, s8, 5
	v_pk_fma_f16 v42, v34, v16, v42
	v_pk_fma_f16 v27, v34, v40, v27
	;; [unrolled: 1-line block ×8, first 2 shown]
	v_mul_u32_u24_sdwa v35, v53, s24 dst_sel:DWORD dst_unused:UNUSED_PAD src0_sel:WORD_0 src1_sel:DWORD
	v_mul_u32_u24_sdwa v40, v53, s24 dst_sel:DWORD dst_unused:UNUSED_PAD src0_sel:WORD_1 src1_sel:DWORD
	v_mul_u32_u24_sdwa v41, v54, s24 dst_sel:DWORD dst_unused:UNUSED_PAD src0_sel:WORD_0 src1_sel:DWORD
	v_mul_u32_u24_sdwa v43, v54, s24 dst_sel:DWORD dst_unused:UNUSED_PAD src0_sel:WORD_1 src1_sel:DWORD
	s_add_i32 s6, s8, s6
	v_pk_fma_f16 v34, v36, v35, v42
	v_pk_fma_f16 v27, v36, v40, v27
	;; [unrolled: 1-line block ×7, first 2 shown]
	s_cmp_ge_i32 s6, s28
	v_pk_fma_f16 v16, v37, v43, v39
	s_cbranch_scc1 .LBB19_15
; %bb.37:                               ;   in Loop: Header=BB19_20 Depth=1
	v_mov_b32_e32 v44, v1
	v_mov_b32_e32 v43, v2
	;; [unrolled: 1-line block ×8, first 2 shown]
	s_branch .LBB19_20
.LBB19_38:
	v_mov_b32_e32 v12, v8
	v_mov_b32_e32 v11, v7
	v_mov_b32_e32 v10, v6
	v_mov_b32_e32 v9, v5
	v_cmp_gt_i32_e32 vcc, s2, v13
	s_and_saveexec_b64 s[0:1], vcc
	s_cbranch_execz .LBB19_17
.LBB19_39:
	s_load_dword s6, s[4:5], 0xd4
	v_mov_b32_e32 v19, 1.0
	s_waitcnt lgkmcnt(0)
	s_cmp_lg_u32 s6, 1
	s_cselect_b64 s[0:1], -1, 0
	s_cmp_eq_u32 s6, 1
	s_cselect_b64 s[4:5], -1, 0
	s_and_b64 vcc, exec, s[0:1]
	s_cbranch_vccnz .LBB19_41
; %bb.40:
	v_div_scale_f32 v19, s[8:9], v5, v5, 1.0
	v_div_scale_f32 v20, vcc, 1.0, v5, 1.0
	v_rcp_f32_e32 v21, v19
	v_fma_f32 v22, -v19, v21, 1.0
	v_fmac_f32_e32 v21, v22, v21
	v_mul_f32_e32 v22, v20, v21
	v_fma_f32 v23, -v19, v22, v20
	v_fmac_f32_e32 v22, v23, v21
	v_fma_f32 v19, -v19, v22, v20
	v_div_fmas_f32 v19, v19, v21, v22
	v_div_fixup_f32 v19, v19, v5, 1.0
.LBB19_41:
	s_mul_i32 s33, s33, s2
	v_add_u32_e32 v5, s33, v13
	v_mul_lo_u32 v5, v5, s3
	v_cmp_eq_u32_e32 vcc, 0, v0
	v_cvt_f32_f16_e32 v0, v34
	v_mov_b32_e32 v26, 0
	v_add3_u32 v5, s29, v14, v5
	v_mul_lo_u32 v5, s6, v5
	v_cvt_f32_f16_sdwa v14, v34 dst_sel:DWORD dst_unused:UNUSED_PAD src0_sel:WORD_1
	v_cvt_f32_f16_e32 v22, v36
	s_and_b64 s[2:3], vcc, s[0:1]
	v_add_u32_e32 v13, s7, v5
	v_lshl_add_u32 v25, v13, 7, v15
	v_cvt_f32_f16_sdwa v5, v36 dst_sel:DWORD dst_unused:UNUSED_PAD src0_sel:WORD_1
	v_lshlrev_b64 v[25:26], 2, v[25:26]
	v_mul_f32_e32 v20, v19, v0
	v_mov_b32_e32 v0, s21
	v_add_co_u32_e32 v25, vcc, s20, v25
	v_mul_f32_e32 v21, v19, v14
	v_mul_f32_e32 v22, v19, v22
	;; [unrolled: 1-line block ×3, first 2 shown]
	v_addc_co_u32_e32 v26, vcc, v0, v26, vcc
	global_store_dwordx4 v[25:26], v[20:23], off
	s_and_saveexec_b64 s[0:1], s[2:3]
	s_cbranch_execz .LBB19_43
; %bb.42:
	v_ashrrev_i32_e32 v14, 31, v13
	v_lshlrev_b64 v[19:20], 3, v[13:14]
	v_mov_b32_e32 v0, s23
	v_add_co_u32_e32 v19, vcc, s22, v19
	v_addc_co_u32_e32 v20, vcc, v0, v20, vcc
	v_mov_b32_e32 v0, v1
	v_mov_b32_e32 v1, v9
	global_store_dwordx2 v[19:20], v[0:1], off
.LBB19_43:
	s_or_b64 exec, exec, s[0:1]
	v_cndmask_b32_e64 v0, 0, 1, s[4:5]
	v_cmp_ne_u32_e64 s[0:1], 1, v0
	s_andn2_b64 vcc, exec, s[4:5]
	v_mov_b32_e32 v1, 1.0
	s_cbranch_vccnz .LBB19_45
; %bb.44:
	v_div_scale_f32 v0, s[4:5], v6, v6, 1.0
	v_div_scale_f32 v1, vcc, 1.0, v6, 1.0
	v_rcp_f32_e32 v5, v0
	v_fma_f32 v9, -v0, v5, 1.0
	v_fmac_f32_e32 v5, v9, v5
	v_mul_f32_e32 v9, v1, v5
	v_fma_f32 v14, -v0, v9, v1
	v_fmac_f32_e32 v9, v14, v5
	v_fma_f32 v0, -v0, v9, v1
	v_div_fmas_f32 v0, v0, v5, v9
	v_div_fixup_f32 v1, v0, v6, 1.0
.LBB19_45:
	v_add_u32_e32 v0, s6, v13
	v_cvt_f32_f16_e32 v9, v27
	v_cvt_f32_f16_sdwa v13, v27 dst_sel:DWORD dst_unused:UNUSED_PAD src0_sel:WORD_1
	v_cvt_f32_f16_e32 v14, v35
	v_cvt_f32_f16_sdwa v22, v35 dst_sel:DWORD dst_unused:UNUSED_PAD src0_sel:WORD_1
	v_lshl_add_u32 v5, v0, 7, v15
	v_mov_b32_e32 v6, 0
	v_lshlrev_b64 v[5:6], 2, v[5:6]
	v_mul_f32_e32 v19, v1, v9
	v_mul_f32_e32 v20, v1, v13
	;; [unrolled: 1-line block ×4, first 2 shown]
	v_mov_b32_e32 v1, s21
	v_add_co_u32_e32 v5, vcc, s20, v5
	v_addc_co_u32_e32 v6, vcc, v1, v6, vcc
	global_store_dwordx4 v[5:6], v[19:22], off
	s_and_saveexec_b64 s[4:5], s[2:3]
	s_cbranch_execz .LBB19_47
; %bb.46:
	v_ashrrev_i32_e32 v1, 31, v0
	v_lshlrev_b64 v[5:6], 3, v[0:1]
	v_mov_b32_e32 v1, s23
	v_add_co_u32_e32 v5, vcc, s22, v5
	v_addc_co_u32_e32 v6, vcc, v1, v6, vcc
	v_mov_b32_e32 v9, v2
	global_store_dwordx2 v[5:6], v[9:10], off
.LBB19_47:
	s_or_b64 exec, exec, s[4:5]
	s_and_b64 vcc, exec, s[0:1]
	v_mov_b32_e32 v1, 1.0
	s_cbranch_vccnz .LBB19_49
; %bb.48:
	v_div_scale_f32 v1, s[4:5], v7, v7, 1.0
	v_div_scale_f32 v2, vcc, 1.0, v7, 1.0
	v_rcp_f32_e32 v5, v1
	v_fma_f32 v6, -v1, v5, 1.0
	v_fmac_f32_e32 v5, v6, v5
	v_mul_f32_e32 v6, v2, v5
	v_fma_f32 v9, -v1, v6, v2
	v_fmac_f32_e32 v6, v9, v5
	v_fma_f32 v1, -v1, v6, v2
	v_div_fmas_f32 v1, v1, v5, v6
	v_div_fixup_f32 v1, v1, v7, 1.0
.LBB19_49:
	v_cvt_f32_f16_e32 v2, v18
	v_cvt_f32_f16_sdwa v7, v18 dst_sel:DWORD dst_unused:UNUSED_PAD src0_sel:WORD_1
	v_cvt_f32_f16_e32 v9, v24
	v_cvt_f32_f16_sdwa v10, v24 dst_sel:DWORD dst_unused:UNUSED_PAD src0_sel:WORD_1
	v_add_u32_e32 v0, s6, v0
	v_lshl_add_u32 v5, v0, 7, v15
	v_mov_b32_e32 v6, 0
	v_mul_f32_e32 v18, v1, v2
	v_mul_f32_e32 v19, v1, v7
	;; [unrolled: 1-line block ×4, first 2 shown]
	v_lshlrev_b64 v[1:2], 2, v[5:6]
	v_mov_b32_e32 v5, s21
	v_add_co_u32_e32 v1, vcc, s20, v1
	v_addc_co_u32_e32 v2, vcc, v5, v2, vcc
	global_store_dwordx4 v[1:2], v[18:21], off
	s_and_saveexec_b64 s[4:5], s[2:3]
	s_cbranch_execz .LBB19_51
; %bb.50:
	v_ashrrev_i32_e32 v1, 31, v0
	v_lshlrev_b64 v[1:2], 3, v[0:1]
	v_mov_b32_e32 v5, s23
	v_add_co_u32_e32 v1, vcc, s22, v1
	v_addc_co_u32_e32 v2, vcc, v5, v2, vcc
	v_mov_b32_e32 v10, v3
	global_store_dwordx2 v[1:2], v[10:11], off
.LBB19_51:
	s_or_b64 exec, exec, s[4:5]
	s_and_b64 vcc, exec, s[0:1]
	v_mov_b32_e32 v1, 1.0
	s_cbranch_vccnz .LBB19_53
; %bb.52:
	v_div_scale_f32 v1, s[0:1], v8, v8, 1.0
	v_div_scale_f32 v2, vcc, 1.0, v8, 1.0
	v_rcp_f32_e32 v3, v1
	v_fma_f32 v5, -v1, v3, 1.0
	v_fmac_f32_e32 v3, v5, v3
	v_mul_f32_e32 v5, v2, v3
	v_fma_f32 v6, -v1, v5, v2
	v_fmac_f32_e32 v5, v6, v3
	v_fma_f32 v1, -v1, v5, v2
	v_div_fmas_f32 v1, v1, v3, v5
	v_div_fixup_f32 v1, v1, v8, 1.0
.LBB19_53:
	v_cvt_f32_f16_e32 v5, v17
	v_cvt_f32_f16_sdwa v6, v17 dst_sel:DWORD dst_unused:UNUSED_PAD src0_sel:WORD_1
	v_cvt_f32_f16_e32 v7, v16
	v_cvt_f32_f16_sdwa v8, v16 dst_sel:DWORD dst_unused:UNUSED_PAD src0_sel:WORD_1
	v_add_u32_e32 v0, s6, v0
	v_lshl_add_u32 v2, v0, 7, v15
	v_mov_b32_e32 v3, 0
	v_mul_f32_e32 v5, v1, v5
	v_mul_f32_e32 v6, v1, v6
	;; [unrolled: 1-line block ×4, first 2 shown]
	v_lshlrev_b64 v[1:2], 2, v[2:3]
	v_mov_b32_e32 v3, s21
	v_add_co_u32_e32 v1, vcc, s20, v1
	v_addc_co_u32_e32 v2, vcc, v3, v2, vcc
	global_store_dwordx4 v[1:2], v[5:8], off
	s_and_b64 exec, exec, s[2:3]
	s_cbranch_execz .LBB19_17
; %bb.54:
	v_ashrrev_i32_e32 v1, 31, v0
	v_lshlrev_b64 v[0:1], 3, v[0:1]
	v_mov_b32_e32 v2, s23
	v_add_co_u32_e32 v0, vcc, s22, v0
	v_addc_co_u32_e32 v1, vcc, v2, v1, vcc
	v_mov_b32_e32 v11, v4
	global_store_dwordx2 v[0:1], v[11:12], off
	s_endpgm
	.section	.rodata,"a",@progbits
	.p2align	6, 0x0
	.amdhsa_kernel _ZL15flash_attn_tileILi192ELi128ELi2ELi16ELb1EEvPKcS1_S1_S1_S1_PKiPfP15HIP_vector_typeIfLj2EEffffjfiS5_IjLj3EEiiiiiiiiiiiliiliiiiil
		.amdhsa_group_segment_fixed_size 18944
		.amdhsa_private_segment_fixed_size 0
		.amdhsa_kernarg_size 464
		.amdhsa_user_sgpr_count 6
		.amdhsa_user_sgpr_private_segment_buffer 1
		.amdhsa_user_sgpr_dispatch_ptr 0
		.amdhsa_user_sgpr_queue_ptr 0
		.amdhsa_user_sgpr_kernarg_segment_ptr 1
		.amdhsa_user_sgpr_dispatch_id 0
		.amdhsa_user_sgpr_flat_scratch_init 0
		.amdhsa_user_sgpr_private_segment_size 0
		.amdhsa_uses_dynamic_stack 0
		.amdhsa_system_sgpr_private_segment_wavefront_offset 0
		.amdhsa_system_sgpr_workgroup_id_x 1
		.amdhsa_system_sgpr_workgroup_id_y 1
		.amdhsa_system_sgpr_workgroup_id_z 1
		.amdhsa_system_sgpr_workgroup_info 0
		.amdhsa_system_vgpr_workitem_id 1
		.amdhsa_next_free_vgpr 81
		.amdhsa_next_free_sgpr 98
		.amdhsa_reserve_vcc 1
		.amdhsa_reserve_flat_scratch 0
		.amdhsa_float_round_mode_32 0
		.amdhsa_float_round_mode_16_64 0
		.amdhsa_float_denorm_mode_32 3
		.amdhsa_float_denorm_mode_16_64 3
		.amdhsa_dx10_clamp 1
		.amdhsa_ieee_mode 1
		.amdhsa_fp16_overflow 0
		.amdhsa_exception_fp_ieee_invalid_op 0
		.amdhsa_exception_fp_denorm_src 0
		.amdhsa_exception_fp_ieee_div_zero 0
		.amdhsa_exception_fp_ieee_overflow 0
		.amdhsa_exception_fp_ieee_underflow 0
		.amdhsa_exception_fp_ieee_inexact 0
		.amdhsa_exception_int_div_zero 0
	.end_amdhsa_kernel
	.section	.text._ZL15flash_attn_tileILi192ELi128ELi2ELi16ELb1EEvPKcS1_S1_S1_S1_PKiPfP15HIP_vector_typeIfLj2EEffffjfiS5_IjLj3EEiiiiiiiiiiiliiliiiiil,"axG",@progbits,_ZL15flash_attn_tileILi192ELi128ELi2ELi16ELb1EEvPKcS1_S1_S1_S1_PKiPfP15HIP_vector_typeIfLj2EEffffjfiS5_IjLj3EEiiiiiiiiiiiliiliiiiil,comdat
.Lfunc_end19:
	.size	_ZL15flash_attn_tileILi192ELi128ELi2ELi16ELb1EEvPKcS1_S1_S1_S1_PKiPfP15HIP_vector_typeIfLj2EEffffjfiS5_IjLj3EEiiiiiiiiiiiliiliiiiil, .Lfunc_end19-_ZL15flash_attn_tileILi192ELi128ELi2ELi16ELb1EEvPKcS1_S1_S1_S1_PKiPfP15HIP_vector_typeIfLj2EEffffjfiS5_IjLj3EEiiiiiiiiiiiliiliiiiil
                                        ; -- End function
	.set _ZL15flash_attn_tileILi192ELi128ELi2ELi16ELb1EEvPKcS1_S1_S1_S1_PKiPfP15HIP_vector_typeIfLj2EEffffjfiS5_IjLj3EEiiiiiiiiiiiliiliiiiil.num_vgpr, 81
	.set _ZL15flash_attn_tileILi192ELi128ELi2ELi16ELb1EEvPKcS1_S1_S1_S1_PKiPfP15HIP_vector_typeIfLj2EEffffjfiS5_IjLj3EEiiiiiiiiiiiliiliiiiil.num_agpr, 0
	.set _ZL15flash_attn_tileILi192ELi128ELi2ELi16ELb1EEvPKcS1_S1_S1_S1_PKiPfP15HIP_vector_typeIfLj2EEffffjfiS5_IjLj3EEiiiiiiiiiiiliiliiiiil.numbered_sgpr, 44
	.set _ZL15flash_attn_tileILi192ELi128ELi2ELi16ELb1EEvPKcS1_S1_S1_S1_PKiPfP15HIP_vector_typeIfLj2EEffffjfiS5_IjLj3EEiiiiiiiiiiiliiliiiiil.num_named_barrier, 0
	.set _ZL15flash_attn_tileILi192ELi128ELi2ELi16ELb1EEvPKcS1_S1_S1_S1_PKiPfP15HIP_vector_typeIfLj2EEffffjfiS5_IjLj3EEiiiiiiiiiiiliiliiiiil.private_seg_size, 0
	.set _ZL15flash_attn_tileILi192ELi128ELi2ELi16ELb1EEvPKcS1_S1_S1_S1_PKiPfP15HIP_vector_typeIfLj2EEffffjfiS5_IjLj3EEiiiiiiiiiiiliiliiiiil.uses_vcc, 1
	.set _ZL15flash_attn_tileILi192ELi128ELi2ELi16ELb1EEvPKcS1_S1_S1_S1_PKiPfP15HIP_vector_typeIfLj2EEffffjfiS5_IjLj3EEiiiiiiiiiiiliiliiiiil.uses_flat_scratch, 0
	.set _ZL15flash_attn_tileILi192ELi128ELi2ELi16ELb1EEvPKcS1_S1_S1_S1_PKiPfP15HIP_vector_typeIfLj2EEffffjfiS5_IjLj3EEiiiiiiiiiiiliiliiiiil.has_dyn_sized_stack, 0
	.set _ZL15flash_attn_tileILi192ELi128ELi2ELi16ELb1EEvPKcS1_S1_S1_S1_PKiPfP15HIP_vector_typeIfLj2EEffffjfiS5_IjLj3EEiiiiiiiiiiiliiliiiiil.has_recursion, 0
	.set _ZL15flash_attn_tileILi192ELi128ELi2ELi16ELb1EEvPKcS1_S1_S1_S1_PKiPfP15HIP_vector_typeIfLj2EEffffjfiS5_IjLj3EEiiiiiiiiiiiliiliiiiil.has_indirect_call, 0
	.section	.AMDGPU.csdata,"",@progbits
; Kernel info:
; codeLenInByte = 15060
; TotalNumSgprs: 48
; NumVgprs: 81
; ScratchSize: 0
; MemoryBound: 0
; FloatMode: 240
; IeeeMode: 1
; LDSByteSize: 18944 bytes/workgroup (compile time only)
; SGPRBlocks: 12
; VGPRBlocks: 20
; NumSGPRsForWavesPerEU: 102
; NumVGPRsForWavesPerEU: 81
; Occupancy: 3
; WaveLimiterHint : 1
; COMPUTE_PGM_RSRC2:SCRATCH_EN: 0
; COMPUTE_PGM_RSRC2:USER_SGPR: 6
; COMPUTE_PGM_RSRC2:TRAP_HANDLER: 0
; COMPUTE_PGM_RSRC2:TGID_X_EN: 1
; COMPUTE_PGM_RSRC2:TGID_Y_EN: 1
; COMPUTE_PGM_RSRC2:TGID_Z_EN: 1
; COMPUTE_PGM_RSRC2:TIDIG_COMP_CNT: 1
	.section	.text._ZL15flash_attn_tileILi192ELi128ELi1ELi16ELb1EEvPKcS1_S1_S1_S1_PKiPfP15HIP_vector_typeIfLj2EEffffjfiS5_IjLj3EEiiiiiiiiiiiliiliiiiil,"axG",@progbits,_ZL15flash_attn_tileILi192ELi128ELi1ELi16ELb1EEvPKcS1_S1_S1_S1_PKiPfP15HIP_vector_typeIfLj2EEffffjfiS5_IjLj3EEiiiiiiiiiiiliiliiiiil,comdat
	.globl	_ZL15flash_attn_tileILi192ELi128ELi1ELi16ELb1EEvPKcS1_S1_S1_S1_PKiPfP15HIP_vector_typeIfLj2EEffffjfiS5_IjLj3EEiiiiiiiiiiiliiliiiiil ; -- Begin function _ZL15flash_attn_tileILi192ELi128ELi1ELi16ELb1EEvPKcS1_S1_S1_S1_PKiPfP15HIP_vector_typeIfLj2EEffffjfiS5_IjLj3EEiiiiiiiiiiiliiliiiiil
	.p2align	8
	.type	_ZL15flash_attn_tileILi192ELi128ELi1ELi16ELb1EEvPKcS1_S1_S1_S1_PKiPfP15HIP_vector_typeIfLj2EEffffjfiS5_IjLj3EEiiiiiiiiiiiliiliiiiil,@function
_ZL15flash_attn_tileILi192ELi128ELi1ELi16ELb1EEvPKcS1_S1_S1_S1_PKiPfP15HIP_vector_typeIfLj2EEffffjfiS5_IjLj3EEiiiiiiiiiiiliiliiiiil: ; @_ZL15flash_attn_tileILi192ELi128ELi1ELi16ELb1EEvPKcS1_S1_S1_S1_PKiPfP15HIP_vector_typeIfLj2EEffffjfiS5_IjLj3EEiiiiiiiiiiiliiliiiiil
; %bb.0:
	s_load_dwordx4 s[0:3], s[4:5], 0x5c
	s_load_dwordx2 s[28:29], s[4:5], 0x80
	s_load_dwordx2 s[34:35], s[4:5], 0xb8
	s_mov_b64 s[30:31], 0
	s_waitcnt lgkmcnt(0)
	s_ashr_i32 s9, s3, 31
	s_lshr_b32 s9, s9, 28
	s_add_i32 s9, s3, s9
	s_ashr_i32 s9, s9, 4
	v_cvt_f32_u32_e32 v2, s9
	s_sub_i32 s10, 0, s9
	v_rcp_iflag_f32_e32 v2, v2
	v_mul_f32_e32 v2, 0x4f7ffffe, v2
	v_cvt_u32_f32_e32 v2, v2
	v_readfirstlane_b32 s11, v2
	s_mul_i32 s10, s10, s11
	s_mul_hi_u32 s10, s11, s10
	s_add_i32 s11, s11, s10
	s_mul_hi_u32 s10, s8, s11
	s_mul_i32 s11, s10, s9
	s_sub_i32 s11, s8, s11
	s_add_i32 s12, s10, 1
	s_sub_i32 s13, s11, s9
	s_cmp_ge_u32 s11, s9
	s_cselect_b32 s10, s12, s10
	s_cselect_b32 s11, s13, s11
	s_add_i32 s12, s10, 1
	s_cmp_ge_u32 s11, s9
	s_cselect_b32 s33, s12, s10
	s_abs_i32 s9, s29
	v_cvt_f32_u32_e32 v2, s9
	s_lshl_b32 s8, s8, 4
	s_mul_i32 s12, s33, s3
	s_xor_b32 s10, s3, s29
	v_rcp_iflag_f32_e32 v2, v2
	s_sub_i32 s13, 0, s9
	s_sub_i32 s29, s8, s12
	s_abs_i32 s11, s3
	v_mul_f32_e32 v2, 0x4f7ffffe, v2
	v_cvt_u32_f32_e32 v2, v2
	s_ashr_i32 s10, s10, 31
	v_readfirstlane_b32 s8, v2
	s_mul_i32 s13, s13, s8
	s_mul_hi_u32 s12, s8, s13
	s_add_i32 s8, s8, s12
	s_mul_hi_u32 s8, s11, s8
	s_mul_i32 s12, s8, s9
	s_sub_i32 s11, s11, s12
	s_add_i32 s13, s8, 1
	s_sub_i32 s12, s11, s9
	s_cmp_ge_u32 s11, s9
	s_cselect_b32 s8, s13, s8
	s_cselect_b32 s11, s12, s11
	s_add_i32 s12, s8, 1
	s_cmp_ge_u32 s11, s9
	s_cselect_b32 s8, s12, s8
	s_xor_b32 s8, s8, s10
	s_sub_i32 s37, s8, s10
	s_abs_i32 s36, s37
	v_cvt_f32_u32_e32 v2, s36
	s_load_dwordx16 s[8:23], s[4:5], 0x0
	v_rcp_iflag_f32_e32 v2, v2
	s_waitcnt lgkmcnt(0)
	s_cmp_eq_u64 s[14:15], 0
	v_mul_f32_e32 v2, 0x4f7ffffe, v2
	v_cvt_u32_f32_e32 v2, v2
	v_readfirstlane_b32 s24, v2
	s_cbranch_scc1 .LBB20_2
; %bb.1:
	s_abs_i32 s25, s34
	v_cvt_f32_u32_e32 v2, s25
	s_sub_i32 s34, 0, s25
	s_abs_i32 s31, s33
	s_ashr_i32 s30, s33, 31
	v_rcp_iflag_f32_e32 v2, v2
	s_load_dwordx2 s[26:27], s[4:5], 0xc8
	v_mul_f32_e32 v2, 0x4f7ffffe, v2
	v_cvt_u32_f32_e32 v2, v2
	v_readfirstlane_b32 s38, v2
	s_mul_i32 s34, s34, s38
	s_mul_hi_u32 s34, s38, s34
	s_add_i32 s38, s38, s34
	s_mul_hi_u32 s34, s31, s38
	s_mul_i32 s34, s34, s25
	s_sub_i32 s31, s31, s34
	s_sub_i32 s34, s31, s25
	s_cmp_ge_u32 s31, s25
	s_cselect_b32 s31, s34, s31
	s_sub_i32 s34, s31, s25
	s_cmp_ge_u32 s31, s25
	s_cselect_b32 s25, s34, s31
	s_xor_b32 s25, s25, s30
	s_sub_i32 s25, s25, s30
	s_ashr_i32 s30, s25, 31
	s_waitcnt lgkmcnt(0)
	s_mul_hi_u32 s31, s26, s25
	s_mul_i32 s30, s26, s30
	s_mul_i32 s27, s27, s25
	s_add_i32 s30, s31, s30
	s_add_i32 s27, s30, s27
	s_mul_i32 s25, s26, s25
	s_add_u32 s30, s14, s25
	s_addc_u32 s31, s15, s27
.LBB20_2:
	v_lshrrev_b32_e32 v2, 3, v1
	s_load_dwordx4 s[40:43], s[4:5], 0x70
	v_add_u32_e32 v8, s6, v2
	v_mul_hi_u32 v2, s0, v8
	v_lshlrev_b32_e32 v15, 1, v1
	v_lshlrev_b32_e32 v9, 4, v0
	s_waitcnt lgkmcnt(0)
	s_mul_i32 s0, s33, s42
	v_add_u32_e32 v2, v8, v2
	s_ashr_i32 s15, s0, 31
	v_lshrrev_b32_e32 v2, s1, v2
	s_mul_i32 s14, s29, s41
	s_add_u32 s0, s8, s0
	v_mul_lo_u32 v2, v2, s2
	s_addc_u32 s8, s9, s15
	s_ashr_i32 s9, s14, 31
	s_add_u32 s25, s0, s14
	s_addc_u32 s14, s8, s9
	s_ashr_i32 s9, s41, 31
	s_mov_b32 s8, s41
	s_ashr_i32 s41, s40, 31
	v_sub_u32_e32 v4, v8, v2
	s_lshr_b64 s[0:1], s[40:41], 2
	v_mad_u64_u32 v[2:3], s[0:1], s0, v4, 0
	s_lshr_b32 s0, s41, 2
	v_mad_u64_u32 v[5:6], s[0:1], s0, v4, v[3:4]
	s_lshr_b64 s[0:1], s[8:9], 2
	v_and_b32_e32 v6, 14, v15
	v_mov_b32_e32 v3, v5
	v_mov_b32_e32 v5, s14
	v_mad_u64_u32 v[11:12], s[14:15], s0, v6, 0
	v_lshlrev_b64 v[2:3], 2, v[2:3]
	s_lshr_b32 s8, s9, 2
	v_add_co_u32_e32 v7, vcc, s25, v2
	v_mov_b32_e32 v2, v12
	v_addc_co_u32_e32 v5, vcc, v5, v3, vcc
	v_mad_u64_u32 v[2:3], s[8:9], s8, v6, v[2:3]
	v_add_co_u32_e32 v9, vcc, v7, v9
	v_mov_b32_e32 v12, v2
	v_lshlrev_b64 v[2:3], 2, v[11:12]
	v_addc_co_u32_e32 v10, vcc, 0, v5, vcc
	v_add_co_u32_e32 v2, vcc, v9, v2
	v_addc_co_u32_e32 v3, vcc, v10, v3, vcc
	global_load_dwordx4 v[11:14], v[2:3], off
	s_load_dword s14, s[4:5], 0x40
	v_lshlrev_b32_e32 v5, 3, v0
	s_movk_i32 s8, 0x300
	v_mul_u32_u24_e32 v7, 0x300, v1
	v_mad_u32_u24 v16, v1, s8, v5
	v_cmp_gt_u32_e32 vcc, 16, v0
	s_waitcnt vmcnt(0) lgkmcnt(0)
	v_fma_mixlo_f16 v11, s14, v11, 0
	v_fma_mixlo_f16 v12, s14, v12, 0
	;; [unrolled: 1-line block ×4, first 2 shown]
	v_lshlrev_b32_e32 v12, 16, v12
	v_and_b32_e32 v11, 0xffff, v11
	v_lshlrev_b32_e32 v14, 16, v14
	v_and_b32_e32 v13, 0xffff, v13
	v_or_b32_e32 v11, v12, v11
	v_or3_b32 v12, v14, v13, 0
	v_or3_b32 v11, 0, 0, v11
	ds_write_b64 v16, v[11:12]
	s_and_saveexec_b64 s[8:9], vcc
	s_cbranch_execz .LBB20_4
; %bb.3:
	global_load_dwordx4 v[11:14], v[2:3], off offset:512
	s_waitcnt vmcnt(0)
	v_fma_mixlo_f16 v2, s14, v11, 0
	v_fma_mixlo_f16 v3, s14, v12, 0
	;; [unrolled: 1-line block ×4, first 2 shown]
	v_lshlrev_b32_e32 v3, 16, v3
	v_and_b32_e32 v2, 0xffff, v2
	v_lshlrev_b32_e32 v12, 16, v12
	v_and_b32_e32 v11, 0xffff, v11
	v_or_b32_e32 v2, v3, v2
	v_or3_b32 v3, v12, v11, 0
	v_or3_b32 v2, 0, 0, v2
	v_add_u32_e32 v11, v5, v7
	ds_write_b64 v11, v[2:3] offset:256
.LBB20_4:
	s_or_b64 exec, exec, s[8:9]
	v_or_b32_e32 v11, 1, v15
	v_and_b32_e32 v12, 15, v11
	v_mad_u64_u32 v[2:3], s[8:9], s0, v12, 0
	v_mad_u64_u32 v[12:13], s[0:1], s1, v12, v[3:4]
	v_mov_b32_e32 v3, v12
	v_lshlrev_b64 v[2:3], 2, v[2:3]
	v_add_co_u32_e64 v2, s[0:1], v9, v2
	v_addc_co_u32_e64 v3, s[0:1], v10, v3, s[0:1]
	global_load_dwordx4 v[16:19], v[2:3], off
	s_movk_i32 s0, 0x180
	v_mad_u32_u24 v12, v11, s0, v5
	s_waitcnt vmcnt(0)
	v_fma_mixlo_f16 v9, s14, v16, 0
	v_fma_mixlo_f16 v10, s14, v17, 0
	;; [unrolled: 1-line block ×4, first 2 shown]
	v_lshlrev_b32_e32 v10, 16, v10
	v_and_b32_e32 v9, 0xffff, v9
	v_lshlrev_b32_e32 v14, 16, v14
	v_and_b32_e32 v13, 0xffff, v13
	v_or_b32_e32 v9, v10, v9
	v_or3_b32 v10, v14, v13, 0
	v_or3_b32 v9, 0, 0, v9
	ds_write_b64 v12, v[9:10]
	s_and_saveexec_b64 s[0:1], vcc
	s_cbranch_execz .LBB20_6
; %bb.5:
	global_load_dwordx4 v[16:19], v[2:3], off offset:512
	v_mul_u32_u24_e32 v9, 0x180, v11
	v_add_u32_e32 v9, v5, v9
	s_waitcnt vmcnt(0)
	v_fma_mixlo_f16 v2, s14, v16, 0
	v_fma_mixlo_f16 v3, s14, v17, 0
	;; [unrolled: 1-line block ×4, first 2 shown]
	v_lshlrev_b32_e32 v3, 16, v3
	v_and_b32_e32 v2, 0xffff, v2
	v_lshlrev_b32_e32 v11, 16, v11
	v_and_b32_e32 v10, 0xffff, v10
	v_or_b32_e32 v2, v3, v2
	v_or3_b32 v3, v11, v10, 0
	v_or3_b32 v2, 0, 0, v2
	ds_write_b64 v9, v[2:3] offset:256
.LBB20_6:
	s_or_b64 exec, exec, s[0:1]
	s_cmp_eq_u64 s[18:19], 0
	s_waitcnt lgkmcnt(0)
	s_barrier
	s_cbranch_scc1 .LBB20_8
; %bb.7:
	s_load_dword s0, s[4:5], 0xd0
	s_mov_b32 s1, 0
	s_waitcnt lgkmcnt(0)
	s_mul_i32 s0, s0, s33
	s_add_i32 s0, s0, s6
	s_lshl_b64 s[0:1], s[0:1], 2
	s_add_u32 s0, s18, s0
	s_addc_u32 s1, s19, s1
	s_load_dword s28, s[0:1], 0x0
.LBB20_8:
	s_lshl_b32 s6, s7, 5
	s_waitcnt lgkmcnt(0)
	s_cmp_lt_i32 s6, s28
	v_mbcnt_lo_u32_b32 v23, -1, 0
	s_cbranch_scc1 .LBB20_14
; %bb.9:
	v_mbcnt_hi_u32_b32 v10, -1, v23
	v_and_b32_e32 v2, 0x60, v10
	v_add_u32_e32 v27, 32, v2
	v_xor_b32_e32 v28, 16, v10
	v_xor_b32_e32 v29, 8, v10
	;; [unrolled: 1-line block ×5, first 2 shown]
	v_lshlrev_b32_e32 v9, 2, v0
	s_cbranch_execz .LBB20_15
; %bb.10:
	v_mov_b32_e32 v24, 0
	v_mov_b32_e32 v38, 0
	v_mov_b32_e32 v4, 0xfeffffff
	v_mov_b32_e32 v3, 0xfeffffff
	v_mov_b32_e32 v37, 0
	v_mov_b32_e32 v26, 0
	v_mov_b32_e32 v23, 0
	v_mov_b32_e32 v25, 0
.LBB20_11:
	v_cmp_lt_i32_e32 vcc, v28, v27
	v_cndmask_b32_e32 v1, v10, v28, vcc
	v_lshlrev_b32_e32 v1, 2, v1
	ds_bpermute_b32 v2, v1, v37
	ds_bpermute_b32 v1, v1, v38
	v_cmp_lt_i32_e32 vcc, v29, v27
	v_cndmask_b32_e32 v5, v10, v29, vcc
	v_lshlrev_b32_e32 v5, 2, v5
	s_waitcnt lgkmcnt(1)
	v_add_f32_e32 v2, v37, v2
	s_waitcnt lgkmcnt(0)
	v_add_f32_e32 v1, v38, v1
	ds_bpermute_b32 v7, v5, v2
	ds_bpermute_b32 v5, v5, v1
	v_cmp_lt_i32_e32 vcc, v30, v27
	v_cndmask_b32_e32 v11, v10, v30, vcc
	v_lshlrev_b32_e32 v11, 2, v11
	s_waitcnt lgkmcnt(1)
	v_add_f32_e32 v2, v2, v7
	s_waitcnt lgkmcnt(0)
	v_add_f32_e32 v1, v1, v5
	;; [unrolled: 9-line block ×4, first 2 shown]
	ds_bpermute_b32 v7, v10, v2
	ds_bpermute_b32 v10, v10, v5
	s_cmp_lg_u64 s[16:17], 0
	s_cselect_b64 s[8:9], -1, 0
	s_cmp_eq_u32 s7, 0
	s_cselect_b64 s[10:11], -1, 0
	s_and_b64 s[8:9], s[10:11], s[8:9]
	s_waitcnt lgkmcnt(1)
	v_add_f32_e32 v1, v2, v7
	s_waitcnt lgkmcnt(0)
	v_add_f32_e32 v2, v5, v10
	s_mov_b64 s[0:1], 0
	s_and_b64 vcc, exec, s[8:9]
	v_add_u32_e32 v5, s29, v6
	s_cbranch_vccnz .LBB20_26
; %bb.12:
	v_add_u32_e32 v10, s29, v6
	v_mov_b32_e32 v7, v2
	v_mov_b32_e32 v6, v1
	s_andn2_b64 vcc, exec, s[0:1]
	s_cbranch_vccz .LBB20_27
; %bb.13:
	v_mov_b32_e32 v5, v10
	s_branch .LBB20_28
.LBB20_14:
                                        ; implicit-def: $vgpr10
                                        ; implicit-def: $vgpr27
                                        ; implicit-def: $vgpr28
                                        ; implicit-def: $vgpr29
                                        ; implicit-def: $vgpr30
                                        ; implicit-def: $vgpr31
                                        ; implicit-def: $vgpr32
	v_lshlrev_b32_e32 v9, 2, v0
.LBB20_15:
	s_sub_i32 s0, 0, s36
	s_mul_i32 s0, s0, s24
	s_mul_hi_u32 s0, s24, s0
	s_abs_i32 s19, s29
	s_add_i32 s24, s24, s0
	s_mul_hi_u32 s34, s19, s24
	s_load_dwordx4 s[24:27], s[4:5], 0x98
	s_load_dword s14, s[4:5], 0x54
	s_load_dwordx2 s[0:1], s[4:5], 0x8c
	s_ashr_i32 s38, s29, 31
	s_ashr_i32 s37, s37, 31
	s_waitcnt lgkmcnt(0)
	s_ashr_i32 s15, s26, 2
	s_ashr_i32 s26, s35, 1
	;; [unrolled: 1-line block ×4, first 2 shown]
	s_mul_hi_u32 s35, s24, s33
	s_mul_i32 s39, s24, s0
	s_add_i32 s35, s35, s39
	s_mul_i32 s25, s25, s33
	s_add_i32 s35, s35, s25
	s_mul_i32 s24, s24, s33
	s_add_u32 s10, s10, s24
	s_mul_i32 s25, s34, s36
	s_addc_u32 s11, s11, s35
	s_sub_i32 s19, s19, s25
	s_xor_b32 s24, s38, s37
	s_add_i32 s25, s34, 1
	s_sub_i32 s35, s19, s36
	s_cmp_ge_u32 s19, s36
	s_cselect_b32 s25, s25, s34
	s_cselect_b32 s19, s35, s19
	s_add_i32 s34, s25, 1
	s_cmp_ge_u32 s19, s36
	s_cselect_b32 s19, s34, s25
	s_load_dwordx2 s[8:9], s[4:5], 0xa8
	s_xor_b32 s19, s19, s24
	v_lshrrev_b32_e32 v2, 3, v0
	s_sub_i32 s19, s19, s24
	v_lshl_add_u32 v2, v1, 2, v2
	s_mul_i32 s1, s19, s1
	v_mul_u32_u24_e32 v10, 0x90, v2
	v_mul_lo_u32 v2, s18, v2
	s_ashr_i32 s24, s1, 31
	s_add_u32 s1, s10, s1
	s_addc_u32 s10, s11, s24
	s_waitcnt lgkmcnt(0)
	s_mul_hi_u32 s11, s8, s33
	s_mul_i32 s0, s8, s0
	v_and_b32_e32 v3, 28, v9
	s_add_i32 s0, s11, s0
	s_mul_i32 s9, s9, s33
	v_lshlrev_b32_e32 v12, 2, v3
	v_ashrrev_i32_e32 v3, 31, v2
	s_add_i32 s0, s0, s9
	s_mul_i32 s8, s8, s33
	v_lshlrev_b64 v[2:3], 2, v[2:3]
	s_add_u32 s8, s12, s8
	s_mul_i32 s19, s19, s27
	s_movk_i32 s11, 0x1800
	s_addc_u32 s0, s13, s0
	s_ashr_i32 s9, s19, 31
	v_add3_u32 v11, v10, v12, s11
	v_mov_b32_e32 v10, s10
	v_add_co_u32_e32 v2, vcc, s1, v2
	s_add_u32 s8, s8, s19
	v_addc_co_u32_e32 v3, vcc, v10, v3, vcc
	s_addc_u32 s9, s0, s9
	s_movk_i32 s0, 0x90
	v_add_co_u32_e32 v12, vcc, v2, v12
	v_mov_b32_e32 v2, 0x1800
	v_addc_co_u32_e32 v13, vcc, 0, v3, vcc
	v_mad_u32_u24 v14, v0, s0, v2
	v_mad_u64_u32 v[2:3], s[0:1], v4, s26, v[0:1]
	v_mov_b32_e32 v3, 0x2a00
	v_lshl_add_u32 v1, v1, 7, v3
	v_lshrrev_b32_e32 v3, 4, v0
	v_add_u32_e32 v4, v3, v15
	v_mul_lo_u32 v3, s15, v4
	v_and_b32_e32 v10, 60, v9
	v_lshlrev_b32_e32 v10, 2, v10
	v_lshl_or_b32 v4, v4, 8, v10
	v_add_u32_e32 v15, 0x1800, v4
	v_ashrrev_i32_e32 v4, 31, v3
	v_lshlrev_b64 v[3:4], 2, v[3:4]
	v_mov_b32_e32 v16, s9
	v_add_co_u32_e32 v3, vcc, s8, v3
	v_addc_co_u32_e32 v4, vcc, v16, v4, vcc
	v_add_co_u32_e32 v16, vcc, v3, v10
	s_add_u32 s0, s4, 0xd0
	v_mov_b32_e32 v33, 0
	v_addc_co_u32_e32 v17, vcc, 0, v4, vcc
	s_addc_u32 s1, s5, 0
	v_mov_b32_e32 v36, 0xfeffffff
	v_mov_b32_e32 v25, 0
	;; [unrolled: 1-line block ×3, first 2 shown]
	s_mov_b32 s10, 0x3f200000
	s_mov_b32 s11, 0x3fb8aa3b
	;; [unrolled: 1-line block ×4, first 2 shown]
	v_mov_b32_e32 v19, 0xbd5c1c4e
	v_mov_b32_e32 v20, 0x3e088382
	;; [unrolled: 1-line block ×3, first 2 shown]
	s_brev_b32 s19, -2
	s_mov_b32 s24, 0x10001
	v_mov_b32_e32 v22, 0x7f800000
	v_mbcnt_hi_u32_b32 v10, -1, v23
	v_mov_b32_e32 v23, 0
	v_mov_b32_e32 v26, 0
	;; [unrolled: 1-line block ×5, first 2 shown]
.LBB20_16:                              ; =>This Inner Loop Header: Depth=1
	s_mul_hi_i32 s9, s6, s18
	s_mul_i32 s8, s6, s18
	s_lshl_b64 s[8:9], s[8:9], 2
	v_mov_b32_e32 v4, s9
	v_add_co_u32_e32 v3, vcc, s8, v12
	v_addc_co_u32_e32 v4, vcc, v13, v4, vcc
	global_load_dwordx4 v[27:30], v[3:4], off
	v_mov_b32_e32 v37, 0
	s_waitcnt vmcnt(0)
	ds_write_b128 v11, v[27:30]
	s_waitcnt lgkmcnt(0)
	s_barrier
	ds_read_b128 v[38:41], v14
	ds_read_b128 v[42:45], v7
	v_mov_b32_e32 v29, 0
	ds_read_b128 v[46:49], v7 offset:384
	s_waitcnt lgkmcnt(1)
	;;#ASMSTART
	v_dot2_f32_f16 v29, v38, v42, v29
	;;#ASMEND
	;;#ASMSTART
	v_dot2_f32_f16 v29, v39, v43, v29
	;;#ASMEND
	;;#ASMSTART
	v_dot2_f32_f16 v29, v40, v44, v29
	;;#ASMEND
	;;#ASMSTART
	v_dot2_f32_f16 v29, v41, v45, v29
	;;#ASMEND
	s_waitcnt lgkmcnt(0)
	;;#ASMSTART
	v_dot2_f32_f16 v37, v38, v46, v37
	;;#ASMEND
	;;#ASMSTART
	v_dot2_f32_f16 v37, v39, v47, v37
	;;#ASMEND
	;;#ASMSTART
	v_dot2_f32_f16 v37, v40, v48, v37
	;;#ASMEND
	;;#ASMSTART
	v_dot2_f32_f16 v37, v41, v49, v37
	;;#ASMEND
	ds_read_b128 v[38:41], v14 offset:16
	ds_read_b128 v[42:45], v7 offset:16
	ds_read_b128 v[46:49], v7 offset:400
	s_waitcnt lgkmcnt(1)
	;;#ASMSTART
	v_dot2_f32_f16 v29, v38, v42, v29
	;;#ASMEND
	;;#ASMSTART
	v_dot2_f32_f16 v29, v39, v43, v29
	;;#ASMEND
	;;#ASMSTART
	v_dot2_f32_f16 v29, v40, v44, v29
	;;#ASMEND
	;;#ASMSTART
	v_dot2_f32_f16 v29, v41, v45, v29
	;;#ASMEND
	s_waitcnt lgkmcnt(0)
	;;#ASMSTART
	v_dot2_f32_f16 v37, v38, v46, v37
	;;#ASMEND
	;;#ASMSTART
	v_dot2_f32_f16 v37, v39, v47, v37
	;;#ASMEND
	;;#ASMSTART
	v_dot2_f32_f16 v37, v40, v48, v37
	;;#ASMEND
	;;#ASMSTART
	v_dot2_f32_f16 v37, v41, v49, v37
	;;#ASMEND
	ds_read_b128 v[38:41], v14 offset:32
	ds_read_b128 v[42:45], v7 offset:32
	ds_read_b128 v[46:49], v7 offset:416
	s_waitcnt lgkmcnt(1)
	;;#ASMSTART
	v_dot2_f32_f16 v29, v38, v42, v29
	;;#ASMEND
	;;#ASMSTART
	v_dot2_f32_f16 v29, v39, v43, v29
	;;#ASMEND
	;;#ASMSTART
	v_dot2_f32_f16 v29, v40, v44, v29
	;;#ASMEND
	;;#ASMSTART
	v_dot2_f32_f16 v29, v41, v45, v29
	;;#ASMEND
	s_waitcnt lgkmcnt(0)
	;;#ASMSTART
	v_dot2_f32_f16 v37, v38, v46, v37
	;;#ASMEND
	;;#ASMSTART
	v_dot2_f32_f16 v37, v39, v47, v37
	;;#ASMEND
	;;#ASMSTART
	v_dot2_f32_f16 v37, v40, v48, v37
	;;#ASMEND
	;;#ASMSTART
	v_dot2_f32_f16 v37, v41, v49, v37
	;;#ASMEND
	ds_read_b128 v[38:41], v14 offset:48
	ds_read_b128 v[42:45], v7 offset:48
	ds_read_b128 v[46:49], v7 offset:432
	s_waitcnt lgkmcnt(1)
	;;#ASMSTART
	v_dot2_f32_f16 v29, v38, v42, v29
	;;#ASMEND
	;;#ASMSTART
	v_dot2_f32_f16 v29, v39, v43, v29
	;;#ASMEND
	;;#ASMSTART
	v_dot2_f32_f16 v29, v40, v44, v29
	;;#ASMEND
	;;#ASMSTART
	v_dot2_f32_f16 v29, v41, v45, v29
	;;#ASMEND
	s_waitcnt lgkmcnt(0)
	;;#ASMSTART
	v_dot2_f32_f16 v37, v38, v46, v37
	;;#ASMEND
	;;#ASMSTART
	v_dot2_f32_f16 v37, v39, v47, v37
	;;#ASMEND
	;;#ASMSTART
	v_dot2_f32_f16 v37, v40, v48, v37
	;;#ASMEND
	;;#ASMSTART
	v_dot2_f32_f16 v37, v41, v49, v37
	;;#ASMEND
	ds_read_b128 v[38:41], v14 offset:64
	ds_read_b128 v[42:45], v7 offset:64
	ds_read_b128 v[46:49], v7 offset:448
	s_waitcnt lgkmcnt(1)
	;;#ASMSTART
	v_dot2_f32_f16 v29, v38, v42, v29
	;;#ASMEND
	;;#ASMSTART
	v_dot2_f32_f16 v29, v39, v43, v29
	;;#ASMEND
	;;#ASMSTART
	v_dot2_f32_f16 v29, v40, v44, v29
	;;#ASMEND
	;;#ASMSTART
	v_dot2_f32_f16 v29, v41, v45, v29
	;;#ASMEND
	s_waitcnt lgkmcnt(0)
	;;#ASMSTART
	v_dot2_f32_f16 v37, v38, v46, v37
	;;#ASMEND
	;;#ASMSTART
	v_dot2_f32_f16 v37, v39, v47, v37
	;;#ASMEND
	;;#ASMSTART
	v_dot2_f32_f16 v37, v40, v48, v37
	;;#ASMEND
	;;#ASMSTART
	v_dot2_f32_f16 v37, v41, v49, v37
	;;#ASMEND
	ds_read_b128 v[38:41], v14 offset:80
	ds_read_b128 v[42:45], v7 offset:80
	ds_read_b128 v[46:49], v7 offset:464
	s_waitcnt lgkmcnt(1)
	;;#ASMSTART
	v_dot2_f32_f16 v29, v38, v42, v29
	;;#ASMEND
	;;#ASMSTART
	v_dot2_f32_f16 v29, v39, v43, v29
	;;#ASMEND
	;;#ASMSTART
	v_dot2_f32_f16 v29, v40, v44, v29
	;;#ASMEND
	;;#ASMSTART
	v_dot2_f32_f16 v29, v41, v45, v29
	;;#ASMEND
	s_waitcnt lgkmcnt(0)
	;;#ASMSTART
	v_dot2_f32_f16 v37, v38, v46, v37
	;;#ASMEND
	;;#ASMSTART
	v_dot2_f32_f16 v37, v39, v47, v37
	;;#ASMEND
	;;#ASMSTART
	v_dot2_f32_f16 v37, v40, v48, v37
	;;#ASMEND
	;;#ASMSTART
	v_dot2_f32_f16 v37, v41, v49, v37
	;;#ASMEND
	ds_read_b128 v[38:41], v14 offset:96
	ds_read_b128 v[42:45], v7 offset:96
	ds_read_b128 v[46:49], v7 offset:480
	s_waitcnt lgkmcnt(1)
	;;#ASMSTART
	v_dot2_f32_f16 v29, v38, v42, v29
	;;#ASMEND
	;;#ASMSTART
	v_dot2_f32_f16 v29, v39, v43, v29
	;;#ASMEND
	;;#ASMSTART
	v_dot2_f32_f16 v29, v40, v44, v29
	;;#ASMEND
	;;#ASMSTART
	v_dot2_f32_f16 v29, v41, v45, v29
	;;#ASMEND
	s_waitcnt lgkmcnt(0)
	;;#ASMSTART
	v_dot2_f32_f16 v37, v38, v46, v37
	;;#ASMEND
	;;#ASMSTART
	v_dot2_f32_f16 v37, v39, v47, v37
	;;#ASMEND
	;;#ASMSTART
	v_dot2_f32_f16 v37, v40, v48, v37
	;;#ASMEND
	;;#ASMSTART
	v_dot2_f32_f16 v37, v41, v49, v37
	;;#ASMEND
	ds_read_b128 v[38:41], v14 offset:112
	ds_read_b128 v[42:45], v7 offset:112
	ds_read_b128 v[46:49], v7 offset:496
	s_waitcnt lgkmcnt(1)
	;;#ASMSTART
	v_dot2_f32_f16 v29, v38, v42, v29
	;;#ASMEND
	;;#ASMSTART
	v_dot2_f32_f16 v29, v39, v43, v29
	;;#ASMEND
	;; [unrolled: 3-line block ×4, first 2 shown]
	s_waitcnt lgkmcnt(0)
	;;#ASMSTART
	v_dot2_f32_f16 v37, v38, v46, v37
	;;#ASMEND
	;;#ASMSTART
	v_dot2_f32_f16 v37, v39, v47, v37
	;;#ASMEND
	;; [unrolled: 3-line block ×4, first 2 shown]
	s_barrier
	global_load_dwordx4 v[38:41], v[3:4], off offset:128
                                        ; implicit-def: $vgpr30
	s_waitcnt vmcnt(0)
	ds_write_b128 v11, v[38:41]
	s_waitcnt lgkmcnt(0)
	s_barrier
	ds_read_b128 v[38:41], v14
	ds_read_b128 v[42:45], v7 offset:128
	ds_read_b128 v[46:49], v7 offset:512
	s_waitcnt lgkmcnt(1)
	;;#ASMSTART
	v_dot2_f32_f16 v29, v38, v42, v29
	;;#ASMEND
	;;#ASMSTART
	v_dot2_f32_f16 v29, v39, v43, v29
	;;#ASMEND
	;;#ASMSTART
	v_dot2_f32_f16 v29, v40, v44, v29
	;;#ASMEND
	;;#ASMSTART
	v_dot2_f32_f16 v29, v41, v45, v29
	;;#ASMEND
	s_waitcnt lgkmcnt(0)
	;;#ASMSTART
	v_dot2_f32_f16 v37, v38, v46, v37
	;;#ASMEND
	;;#ASMSTART
	v_dot2_f32_f16 v37, v39, v47, v37
	;;#ASMEND
	;;#ASMSTART
	v_dot2_f32_f16 v37, v40, v48, v37
	;;#ASMEND
	;;#ASMSTART
	v_dot2_f32_f16 v37, v41, v49, v37
	;;#ASMEND
	ds_read_b128 v[38:41], v14 offset:16
	ds_read_b128 v[42:45], v7 offset:144
	ds_read_b128 v[46:49], v7 offset:528
	s_waitcnt lgkmcnt(1)
	;;#ASMSTART
	v_dot2_f32_f16 v29, v38, v42, v29
	;;#ASMEND
	;;#ASMSTART
	v_dot2_f32_f16 v29, v39, v43, v29
	;;#ASMEND
	;;#ASMSTART
	v_dot2_f32_f16 v29, v40, v44, v29
	;;#ASMEND
	;;#ASMSTART
	v_dot2_f32_f16 v29, v41, v45, v29
	;;#ASMEND
	s_waitcnt lgkmcnt(0)
	;;#ASMSTART
	v_dot2_f32_f16 v37, v38, v46, v37
	;;#ASMEND
	;;#ASMSTART
	v_dot2_f32_f16 v37, v39, v47, v37
	;;#ASMEND
	;;#ASMSTART
	v_dot2_f32_f16 v37, v40, v48, v37
	;;#ASMEND
	;;#ASMSTART
	v_dot2_f32_f16 v37, v41, v49, v37
	;;#ASMEND
	ds_read_b128 v[38:41], v14 offset:32
	;; [unrolled: 29-line block ×7, first 2 shown]
	ds_read_b128 v[42:45], v7 offset:240
	ds_read_b128 v[46:49], v7 offset:624
	s_waitcnt lgkmcnt(1)
	;;#ASMSTART
	v_dot2_f32_f16 v29, v38, v42, v29
	;;#ASMEND
	;;#ASMSTART
	v_dot2_f32_f16 v29, v39, v43, v29
	;;#ASMEND
	;; [unrolled: 3-line block ×4, first 2 shown]
	s_waitcnt lgkmcnt(0)
	;;#ASMSTART
	v_dot2_f32_f16 v37, v38, v46, v37
	;;#ASMEND
	;;#ASMSTART
	v_dot2_f32_f16 v37, v39, v47, v37
	;;#ASMEND
	;; [unrolled: 3-line block ×4, first 2 shown]
	s_barrier
	global_load_dwordx4 v[38:41], v[3:4], off offset:256
	v_add_u32_e32 v3, s6, v2
	v_ashrrev_i32_e32 v4, 31, v3
	v_lshlrev_b64 v[3:4], 1, v[3:4]
	v_add_co_u32_e32 v3, vcc, s30, v3
	v_addc_co_u32_e32 v4, vcc, v18, v4, vcc
	s_waitcnt vmcnt(0)
	ds_write_b128 v11, v[38:41]
	s_waitcnt lgkmcnt(0)
	s_barrier
	ds_read_b128 v[38:41], v14
	ds_read_b128 v[42:45], v7 offset:256
	ds_read_b128 v[46:49], v7 offset:640
	s_waitcnt lgkmcnt(1)
	;;#ASMSTART
	v_dot2_f32_f16 v29, v38, v42, v29
	;;#ASMEND
	;;#ASMSTART
	v_dot2_f32_f16 v29, v39, v43, v29
	;;#ASMEND
	;;#ASMSTART
	v_dot2_f32_f16 v29, v40, v44, v29
	;;#ASMEND
	;;#ASMSTART
	v_dot2_f32_f16 v29, v41, v45, v29
	;;#ASMEND
	s_waitcnt lgkmcnt(0)
	;;#ASMSTART
	v_dot2_f32_f16 v37, v38, v46, v37
	;;#ASMEND
	;;#ASMSTART
	v_dot2_f32_f16 v37, v39, v47, v37
	;;#ASMEND
	;;#ASMSTART
	v_dot2_f32_f16 v37, v40, v48, v37
	;;#ASMEND
	;;#ASMSTART
	v_dot2_f32_f16 v37, v41, v49, v37
	;;#ASMEND
	ds_read_b128 v[38:41], v14 offset:16
	ds_read_b128 v[42:45], v7 offset:272
	ds_read_b128 v[46:49], v7 offset:656
	s_waitcnt lgkmcnt(1)
	;;#ASMSTART
	v_dot2_f32_f16 v29, v38, v42, v29
	;;#ASMEND
	;;#ASMSTART
	v_dot2_f32_f16 v29, v39, v43, v29
	;;#ASMEND
	;;#ASMSTART
	v_dot2_f32_f16 v29, v40, v44, v29
	;;#ASMEND
	;;#ASMSTART
	v_dot2_f32_f16 v29, v41, v45, v29
	;;#ASMEND
	s_waitcnt lgkmcnt(0)
	;;#ASMSTART
	v_dot2_f32_f16 v37, v38, v46, v37
	;;#ASMEND
	;;#ASMSTART
	v_dot2_f32_f16 v37, v39, v47, v37
	;;#ASMEND
	;;#ASMSTART
	v_dot2_f32_f16 v37, v40, v48, v37
	;;#ASMEND
	;;#ASMSTART
	v_dot2_f32_f16 v37, v41, v49, v37
	;;#ASMEND
	ds_read_b128 v[38:41], v14 offset:32
	;; [unrolled: 29-line block ×7, first 2 shown]
	ds_read_b128 v[42:45], v7 offset:368
	ds_read_b128 v[46:49], v7 offset:752
	s_waitcnt lgkmcnt(1)
	;;#ASMSTART
	v_dot2_f32_f16 v29, v38, v42, v29
	;;#ASMEND
	;;#ASMSTART
	v_dot2_f32_f16 v29, v39, v43, v29
	;;#ASMEND
	;; [unrolled: 3-line block ×4, first 2 shown]
	s_waitcnt lgkmcnt(0)
	;;#ASMSTART
	v_dot2_f32_f16 v37, v38, v46, v37
	;;#ASMEND
	;;#ASMSTART
	v_dot2_f32_f16 v37, v39, v47, v37
	;;#ASMEND
	;; [unrolled: 3-line block ×4, first 2 shown]
	global_load_ushort v3, v[3:4], off
	v_cmp_nlt_f32_e64 s[8:9], |v29|, s10
	s_and_saveexec_b64 s[26:27], s[8:9]
	s_xor_b64 s[8:9], exec, s[26:27]
	s_cbranch_execz .LBB20_18
; %bb.17:                               ;   in Loop: Header=BB20_16 Depth=1
	v_add_f32_e64 v4, |v29|, |v29|
	v_mul_f32_e32 v27, 0x3fb8aa3b, v4
	v_rndne_f32_e32 v28, v27
	v_sub_f32_e32 v30, v27, v28
	v_fma_f32 v27, v4, s11, -v27
	v_fmac_f32_e32 v27, 0x32a5705f, v4
	v_add_f32_e32 v27, v30, v27
	v_cvt_i32_f32_e32 v28, v28
	v_exp_f32_e32 v27, v27
	v_cmp_ngt_f32_e32 vcc, s12, v4
	v_ldexp_f32 v27, v27, v28
	v_cndmask_b32_e32 v27, 0, v27, vcc
	v_cmp_nlt_f32_e32 vcc, s13, v4
	v_cndmask_b32_e32 v4, v22, v27, vcc
	v_add_f32_e32 v4, 1.0, v4
	v_rcp_f32_e32 v4, v4
	v_fma_f32 v30, v4, -2.0, 1.0
.LBB20_18:                              ;   in Loop: Header=BB20_16 Depth=1
	s_andn2_saveexec_b64 s[8:9], s[8:9]
; %bb.19:                               ;   in Loop: Header=BB20_16 Depth=1
	v_mul_f32_e32 v4, v29, v29
	v_mov_b32_e32 v27, 0x3ca908c9
	v_fmac_f32_e32 v27, 0xbbbac73d, v4
	v_fma_f32 v27, v4, v27, v19
	v_fma_f32 v27, v4, v27, v20
	v_fma_f32 v27, v4, v27, v21
	v_mul_f32_e64 v27, |v29|, v27
	v_fma_f32 v30, v4, v27, |v29|
; %bb.20:                               ;   in Loop: Header=BB20_16 Depth=1
	s_or_b64 exec, exec, s[8:9]
	v_and_b32_e32 v4, 0x60, v10
	v_add_u32_e32 v27, 32, v4
	v_xor_b32_e32 v28, 16, v10
	v_bfi_b32 v29, s19, v30, v29
	v_cmp_lt_i32_e32 vcc, v28, v27
	s_waitcnt vmcnt(0)
	v_fma_mix_f32 v38, s14, v29, v3 op_sel_hi:[0,0,1]
	v_cndmask_b32_e32 v4, v10, v28, vcc
	v_add_f32_e32 v29, 0x40051340, v38
	v_max_f32_e32 v30, v36, v36
	v_lshlrev_b32_e32 v4, 2, v4
	v_max_f32_e32 v30, v30, v29
	ds_bpermute_b32 v31, v4, v30
	v_xor_b32_e32 v29, 8, v10
	v_cmp_lt_i32_e32 vcc, v29, v27
	v_cndmask_b32_e32 v32, v10, v29, vcc
	v_lshlrev_b32_e32 v39, 2, v32
	s_waitcnt lgkmcnt(0)
	v_max_f32_e32 v31, v31, v31
	v_max_f32_e32 v31, v30, v31
	ds_bpermute_b32 v32, v39, v31
	v_xor_b32_e32 v30, 4, v10
	v_cmp_lt_i32_e32 vcc, v30, v27
	v_cndmask_b32_e32 v40, v10, v30, vcc
	v_lshlrev_b32_e32 v40, 2, v40
	s_waitcnt lgkmcnt(0)
	v_max_f32_e32 v32, v32, v32
	;; [unrolled: 8-line block ×4, first 2 shown]
	v_max_f32_e32 v43, v43, v44
	ds_bpermute_b32 v44, v42, v43
	v_cmp_nlt_f32_e64 s[8:9], |v37|, s10
                                        ; implicit-def: $vgpr45
	s_and_saveexec_b64 s[26:27], s[8:9]
	s_xor_b64 s[8:9], exec, s[26:27]
	s_cbranch_execz .LBB20_22
; %bb.21:                               ;   in Loop: Header=BB20_16 Depth=1
	v_add_f32_e64 v45, |v37|, |v37|
	v_mul_f32_e32 v46, 0x3fb8aa3b, v45
	v_rndne_f32_e32 v47, v46
	v_sub_f32_e32 v48, v46, v47
	v_fma_f32 v46, v45, s11, -v46
	v_fmac_f32_e32 v46, 0x32a5705f, v45
	v_add_f32_e32 v46, v48, v46
	v_cvt_i32_f32_e32 v47, v47
	v_exp_f32_e32 v46, v46
	v_cmp_ngt_f32_e32 vcc, s12, v45
	v_ldexp_f32 v46, v46, v47
	v_cndmask_b32_e32 v46, 0, v46, vcc
	v_cmp_nlt_f32_e32 vcc, s13, v45
	v_cndmask_b32_e32 v45, v22, v46, vcc
	v_add_f32_e32 v45, 1.0, v45
	v_rcp_f32_e32 v45, v45
	v_fma_f32 v45, v45, -2.0, 1.0
.LBB20_22:                              ;   in Loop: Header=BB20_16 Depth=1
	s_andn2_saveexec_b64 s[8:9], s[8:9]
; %bb.23:                               ;   in Loop: Header=BB20_16 Depth=1
	v_mul_f32_e32 v45, v37, v37
	v_mov_b32_e32 v46, 0x3ca908c9
	v_fmac_f32_e32 v46, 0xbbbac73d, v45
	v_fma_f32 v46, v45, v46, v19
	v_fma_f32 v46, v45, v46, v20
	;; [unrolled: 1-line block ×3, first 2 shown]
	v_mul_f32_e64 v46, |v37|, v46
	v_fma_f32 v45, v45, v46, |v37|
; %bb.24:                               ;   in Loop: Header=BB20_16 Depth=1
	s_or_b64 exec, exec, s[8:9]
	v_cvt_f32_f16_e32 v46, v3
	v_bfi_b32 v37, s19, v45, v37
	s_waitcnt lgkmcnt(0)
	v_max_f32_e32 v3, v44, v44
	v_max_f32_e32 v43, v43, v43
	v_fmac_f32_e32 v46, s14, v37
	v_max_f32_e32 v3, v43, v3
	v_add_f32_e32 v37, 0x40051340, v46
	v_max_f32_e32 v43, v35, v35
	v_max_f32_e32 v37, v43, v37
	ds_bpermute_b32 v4, v4, v37
	v_sub_f32_e32 v36, v36, v3
	v_cmp_ngt_f32_e32 vcc, s12, v36
	s_mul_hi_i32 s9, s6, s15
	s_mul_i32 s8, s6, s15
	s_waitcnt lgkmcnt(0)
	v_max_f32_e32 v4, v4, v4
	v_max_f32_e32 v4, v37, v4
	ds_bpermute_b32 v37, v39, v4
	s_lshl_b64 s[8:9], s[8:9], 2
	s_waitcnt lgkmcnt(0)
	s_barrier
	v_max_f32_e32 v37, v37, v37
	v_max_f32_e32 v4, v4, v37
	ds_bpermute_b32 v37, v40, v4
	s_waitcnt lgkmcnt(0)
	v_max_f32_e32 v37, v37, v37
	v_max_f32_e32 v4, v4, v37
	ds_bpermute_b32 v37, v41, v4
	s_waitcnt lgkmcnt(0)
	;; [unrolled: 4-line block ×3, first 2 shown]
	v_max_f32_e32 v37, v37, v37
	v_max_f32_e32 v4, v4, v37
	v_mul_f32_e32 v37, 0x3fb8aa3b, v36
	v_fma_f32 v39, v36, s11, -v37
	v_rndne_f32_e32 v40, v37
	v_fmac_f32_e32 v39, 0x32a5705f, v36
	v_sub_f32_e32 v37, v37, v40
	v_add_f32_e32 v37, v37, v39
	v_exp_f32_e32 v37, v37
	v_cvt_i32_f32_e32 v39, v40
	v_sub_f32_e32 v35, v35, v4
	v_ldexp_f32 v37, v37, v39
	v_cndmask_b32_e32 v37, 0, v37, vcc
	v_cmp_nlt_f32_e32 vcc, s13, v36
	v_cndmask_b32_e32 v36, v22, v37, vcc
	v_sub_f32_e32 v37, v38, v3
	v_mul_f32_e32 v38, 0x3fb8aa3b, v37
	v_fma_f32 v39, v37, s11, -v38
	v_rndne_f32_e32 v40, v38
	v_fmac_f32_e32 v39, 0x32a5705f, v37
	v_sub_f32_e32 v38, v38, v40
	v_add_f32_e32 v38, v38, v39
	v_exp_f32_e32 v38, v38
	v_cvt_i32_f32_e32 v39, v40
	v_cmp_ngt_f32_e32 vcc, s12, v37
	v_ldexp_f32 v38, v38, v39
	v_cndmask_b32_e32 v38, 0, v38, vcc
	v_cmp_nlt_f32_e32 vcc, s13, v37
	v_cndmask_b32_e32 v37, v22, v38, vcc
	v_cvt_f16_f32_e32 v39, v37
	v_fmac_f32_e32 v37, v33, v36
	v_cvt_f16_f32_e32 v33, v36
	v_mul_f32_e32 v36, 0x3fb8aa3b, v35
	v_fma_f32 v38, v35, s11, -v36
	v_rndne_f32_e32 v40, v36
	v_fmac_f32_e32 v38, 0x32a5705f, v35
	v_sub_f32_e32 v36, v36, v40
	v_add_f32_e32 v36, v36, v38
	v_exp_f32_e32 v36, v36
	v_cvt_i32_f32_e32 v38, v40
	v_cmp_ngt_f32_e32 vcc, s12, v35
	v_mul_u32_u24_e32 v33, 0x10001, v33
	v_pk_mul_f16 v26, v26, v33
	v_ldexp_f32 v36, v36, v38
	v_cndmask_b32_e32 v36, 0, v36, vcc
	v_cmp_nlt_f32_e32 vcc, s13, v35
	v_cndmask_b32_e32 v35, v22, v36, vcc
	v_sub_f32_e32 v36, v46, v4
	v_mul_f32_e32 v38, 0x3fb8aa3b, v36
	v_fma_f32 v40, v36, s11, -v38
	v_rndne_f32_e32 v41, v38
	v_fmac_f32_e32 v40, 0x32a5705f, v36
	v_sub_f32_e32 v38, v38, v41
	v_add_f32_e32 v38, v38, v40
	v_exp_f32_e32 v38, v38
	v_cvt_i32_f32_e32 v40, v41
	v_cmp_ngt_f32_e32 vcc, s12, v36
	v_ldexp_f32 v38, v38, v40
	v_cndmask_b32_e32 v38, 0, v38, vcc
	v_cmp_nlt_f32_e32 vcc, s13, v36
	v_cndmask_b32_e32 v38, v22, v38, vcc
	v_cvt_f16_f32_e32 v36, v38
	v_fmac_f32_e32 v38, v34, v35
	v_cvt_f16_f32_e32 v34, v35
	v_pack_b32_f16 v36, v39, v36
	v_add_co_u32_e32 v39, vcc, s8, v16
	v_mul_u32_u24_e32 v35, 0x10001, v34
	v_pk_mul_f16 v34, v25, v35
	v_add_u32_e32 v25, v1, v9
	ds_write_b32 v25, v36
	v_mov_b32_e32 v25, s9
	v_addc_co_u32_e32 v40, vcc, v17, v25, vcc
	global_load_dwordx4 v[39:42], v[39:40], off
	v_add_u32_e32 v25, 0x1800, v5
	s_or_b32 s8, s6, 16
	s_mul_hi_i32 s9, s8, s15
	s_mul_i32 s8, s8, s15
	s_lshl_b64 s[8:9], s[8:9], 2
	s_waitcnt vmcnt(0)
	ds_write_b128 v15, v[39:42]
	s_waitcnt lgkmcnt(0)
	s_barrier
	ds_read2_b64 v[39:42], v25 offset1:32
	ds_read_b128 v[43:46], v1
	ds_read_b128 v[47:50], v1 offset:16
	ds_read_b128 v[51:54], v1 offset:32
	ds_read_b128 v[55:58], v1 offset:48
	s_waitcnt lgkmcnt(3)
	v_mul_u32_u24_sdwa v36, v43, s24 dst_sel:DWORD dst_unused:UNUSED_PAD src0_sel:WORD_0 src1_sel:DWORD
	v_mul_u32_u24_sdwa v43, v43, s24 dst_sel:DWORD dst_unused:UNUSED_PAD src0_sel:WORD_1 src1_sel:DWORD
	v_pk_mul_f16 v59, v39, v36
	v_pk_fma_f16 v24, v24, v33, v59
	v_pk_mul_f16 v33, v39, v43
	v_pk_fma_f16 v23, v23, v35, v33
	v_pk_fma_f16 v26, v40, v36, v26
	;; [unrolled: 1-line block ×3, first 2 shown]
	v_mul_u32_u24_sdwa v34, v44, s24 dst_sel:DWORD dst_unused:UNUSED_PAD src0_sel:WORD_0 src1_sel:DWORD
	v_mul_u32_u24_sdwa v35, v44, s24 dst_sel:DWORD dst_unused:UNUSED_PAD src0_sel:WORD_1 src1_sel:DWORD
	v_pk_fma_f16 v24, v41, v34, v24
	v_pk_fma_f16 v23, v41, v35, v23
	;; [unrolled: 1-line block ×4, first 2 shown]
	ds_read2_b64 v[33:36], v25 offset0:64 offset1:96
	v_mul_u32_u24_sdwa v40, v45, s24 dst_sel:DWORD dst_unused:UNUSED_PAD src0_sel:WORD_0 src1_sel:DWORD
	v_mul_u32_u24_sdwa v41, v45, s24 dst_sel:DWORD dst_unused:UNUSED_PAD src0_sel:WORD_1 src1_sel:DWORD
	s_waitcnt lgkmcnt(2)
	v_mul_u32_u24_sdwa v42, v51, s24 dst_sel:DWORD dst_unused:UNUSED_PAD src0_sel:WORD_1 src1_sel:DWORD
	s_waitcnt lgkmcnt(0)
	v_pk_fma_f16 v24, v33, v40, v24
	v_pk_fma_f16 v23, v33, v41, v23
	;; [unrolled: 1-line block ×4, first 2 shown]
	v_mul_u32_u24_sdwa v34, v46, s24 dst_sel:DWORD dst_unused:UNUSED_PAD src0_sel:WORD_0 src1_sel:DWORD
	v_mul_u32_u24_sdwa v39, v46, s24 dst_sel:DWORD dst_unused:UNUSED_PAD src0_sel:WORD_1 src1_sel:DWORD
	v_pk_fma_f16 v24, v35, v34, v24
	v_pk_fma_f16 v23, v35, v39, v23
	;; [unrolled: 1-line block ×4, first 2 shown]
	ds_read2_b64 v[33:36], v25 offset0:128 offset1:160
	v_mul_u32_u24_sdwa v40, v47, s24 dst_sel:DWORD dst_unused:UNUSED_PAD src0_sel:WORD_0 src1_sel:DWORD
	v_mul_u32_u24_sdwa v41, v47, s24 dst_sel:DWORD dst_unused:UNUSED_PAD src0_sel:WORD_1 src1_sel:DWORD
	s_waitcnt lgkmcnt(0)
	v_pk_fma_f16 v24, v33, v40, v24
	v_pk_fma_f16 v23, v33, v41, v23
	;; [unrolled: 1-line block ×4, first 2 shown]
	v_mul_u32_u24_sdwa v34, v48, s24 dst_sel:DWORD dst_unused:UNUSED_PAD src0_sel:WORD_0 src1_sel:DWORD
	v_mul_u32_u24_sdwa v39, v48, s24 dst_sel:DWORD dst_unused:UNUSED_PAD src0_sel:WORD_1 src1_sel:DWORD
	v_pk_fma_f16 v24, v35, v34, v24
	v_pk_fma_f16 v23, v35, v39, v23
	;; [unrolled: 1-line block ×4, first 2 shown]
	ds_read2_b64 v[33:36], v25 offset0:192 offset1:224
	v_mul_u32_u24_sdwa v40, v49, s24 dst_sel:DWORD dst_unused:UNUSED_PAD src0_sel:WORD_0 src1_sel:DWORD
	v_mul_u32_u24_sdwa v41, v49, s24 dst_sel:DWORD dst_unused:UNUSED_PAD src0_sel:WORD_1 src1_sel:DWORD
	s_waitcnt lgkmcnt(0)
	v_pk_fma_f16 v24, v33, v40, v24
	v_pk_fma_f16 v23, v33, v41, v23
	;; [unrolled: 1-line block ×3, first 2 shown]
	v_mul_u32_u24_sdwa v39, v50, s24 dst_sel:DWORD dst_unused:UNUSED_PAD src0_sel:WORD_1 src1_sel:DWORD
	v_pk_fma_f16 v26, v34, v40, v26
	v_mul_u32_u24_sdwa v34, v50, s24 dst_sel:DWORD dst_unused:UNUSED_PAD src0_sel:WORD_0 src1_sel:DWORD
	v_pk_fma_f16 v40, v35, v39, v23
	v_add_u32_e32 v23, 0x2000, v5
	v_pk_fma_f16 v24, v35, v34, v24
	v_pk_fma_f16 v26, v36, v34, v26
	;; [unrolled: 1-line block ×3, first 2 shown]
	ds_read2_b64 v[33:36], v23 offset1:32
	v_mul_u32_u24_sdwa v41, v51, s24 dst_sel:DWORD dst_unused:UNUSED_PAD src0_sel:WORD_0 src1_sel:DWORD
	s_waitcnt lgkmcnt(0)
	v_pk_fma_f16 v24, v33, v41, v24
	v_pk_fma_f16 v33, v33, v42, v40
	v_pk_fma_f16 v26, v34, v41, v26
	v_pk_fma_f16 v34, v34, v42, v39
	v_mul_u32_u24_sdwa v39, v52, s24 dst_sel:DWORD dst_unused:UNUSED_PAD src0_sel:WORD_0 src1_sel:DWORD
	v_mul_u32_u24_sdwa v40, v52, s24 dst_sel:DWORD dst_unused:UNUSED_PAD src0_sel:WORD_1 src1_sel:DWORD
	v_pk_fma_f16 v24, v35, v39, v24
	v_pk_fma_f16 v41, v35, v40, v33
	v_pk_fma_f16 v26, v36, v39, v26
	v_pk_fma_f16 v39, v36, v40, v34
	ds_read2_b64 v[33:36], v23 offset0:64 offset1:96
	v_mul_u32_u24_sdwa v40, v53, s24 dst_sel:DWORD dst_unused:UNUSED_PAD src0_sel:WORD_0 src1_sel:DWORD
	v_mul_u32_u24_sdwa v42, v53, s24 dst_sel:DWORD dst_unused:UNUSED_PAD src0_sel:WORD_1 src1_sel:DWORD
	s_waitcnt lgkmcnt(0)
	v_pk_fma_f16 v24, v33, v40, v24
	v_pk_fma_f16 v33, v33, v42, v41
	v_pk_fma_f16 v26, v34, v40, v26
	v_pk_fma_f16 v34, v34, v42, v39
	v_mul_u32_u24_sdwa v39, v54, s24 dst_sel:DWORD dst_unused:UNUSED_PAD src0_sel:WORD_0 src1_sel:DWORD
	v_mul_u32_u24_sdwa v40, v54, s24 dst_sel:DWORD dst_unused:UNUSED_PAD src0_sel:WORD_1 src1_sel:DWORD
	v_pk_fma_f16 v24, v35, v39, v24
	v_pk_fma_f16 v41, v35, v40, v33
	v_pk_fma_f16 v26, v36, v39, v26
	v_pk_fma_f16 v39, v36, v40, v34
	ds_read2_b64 v[33:36], v23 offset0:128 offset1:160
	v_mul_u32_u24_sdwa v40, v55, s24 dst_sel:DWORD dst_unused:UNUSED_PAD src0_sel:WORD_0 src1_sel:DWORD
	v_mul_u32_u24_sdwa v42, v55, s24 dst_sel:DWORD dst_unused:UNUSED_PAD src0_sel:WORD_1 src1_sel:DWORD
	;; [unrolled: 14-line block ×3, first 2 shown]
	s_waitcnt lgkmcnt(0)
	s_barrier
	v_pk_fma_f16 v24, v33, v40, v24
	v_pk_fma_f16 v33, v33, v42, v41
	;; [unrolled: 1-line block ×4, first 2 shown]
	v_mul_u32_u24_sdwa v40, v58, s24 dst_sel:DWORD dst_unused:UNUSED_PAD src0_sel:WORD_1 src1_sel:DWORD
	v_pk_fma_f16 v55, v35, v40, v33
	v_pk_fma_f16 v56, v36, v40, v34
	v_add_co_u32_e32 v33, vcc, s8, v16
	v_mov_b32_e32 v34, s9
	v_mul_u32_u24_sdwa v39, v58, s24 dst_sel:DWORD dst_unused:UNUSED_PAD src0_sel:WORD_0 src1_sel:DWORD
	v_addc_co_u32_e32 v34, vcc, v17, v34, vcc
	v_pk_fma_f16 v24, v35, v39, v24
	v_pk_fma_f16 v26, v36, v39, v26
	global_load_dwordx4 v[33:36], v[33:34], off
	s_waitcnt vmcnt(0)
	ds_write_b128 v15, v[33:36]
	s_waitcnt lgkmcnt(0)
	s_barrier
	ds_read2_b64 v[33:36], v25 offset1:32
	ds_read_b128 v[39:42], v1 offset:64
	ds_read_b128 v[43:46], v1 offset:80
	;; [unrolled: 1-line block ×4, first 2 shown]
	s_waitcnt lgkmcnt(3)
	v_mul_u32_u24_sdwa v57, v39, s24 dst_sel:DWORD dst_unused:UNUSED_PAD src0_sel:WORD_0 src1_sel:DWORD
	v_mul_u32_u24_sdwa v39, v39, s24 dst_sel:DWORD dst_unused:UNUSED_PAD src0_sel:WORD_1 src1_sel:DWORD
	v_pk_fma_f16 v24, v33, v57, v24
	v_pk_fma_f16 v33, v33, v39, v55
	v_pk_fma_f16 v26, v34, v57, v26
	v_pk_fma_f16 v34, v34, v39, v56
	v_mul_u32_u24_sdwa v39, v40, s24 dst_sel:DWORD dst_unused:UNUSED_PAD src0_sel:WORD_0 src1_sel:DWORD
	v_mul_u32_u24_sdwa v40, v40, s24 dst_sel:DWORD dst_unused:UNUSED_PAD src0_sel:WORD_1 src1_sel:DWORD
	v_pk_fma_f16 v24, v35, v39, v24
	v_pk_fma_f16 v55, v35, v40, v33
	v_pk_fma_f16 v26, v36, v39, v26
	v_pk_fma_f16 v39, v36, v40, v34
	ds_read2_b64 v[33:36], v25 offset0:64 offset1:96
	v_mul_u32_u24_sdwa v40, v41, s24 dst_sel:DWORD dst_unused:UNUSED_PAD src0_sel:WORD_0 src1_sel:DWORD
	v_mul_u32_u24_sdwa v41, v41, s24 dst_sel:DWORD dst_unused:UNUSED_PAD src0_sel:WORD_1 src1_sel:DWORD
	s_waitcnt lgkmcnt(0)
	v_pk_fma_f16 v24, v33, v40, v24
	v_pk_fma_f16 v33, v33, v41, v55
	v_pk_fma_f16 v26, v34, v40, v26
	v_pk_fma_f16 v34, v34, v41, v39
	v_mul_u32_u24_sdwa v39, v42, s24 dst_sel:DWORD dst_unused:UNUSED_PAD src0_sel:WORD_0 src1_sel:DWORD
	v_mul_u32_u24_sdwa v40, v42, s24 dst_sel:DWORD dst_unused:UNUSED_PAD src0_sel:WORD_1 src1_sel:DWORD
	v_pk_fma_f16 v24, v35, v39, v24
	v_pk_fma_f16 v41, v35, v40, v33
	v_pk_fma_f16 v26, v36, v39, v26
	v_pk_fma_f16 v39, v36, v40, v34
	ds_read2_b64 v[33:36], v25 offset0:128 offset1:160
	v_mul_u32_u24_sdwa v40, v43, s24 dst_sel:DWORD dst_unused:UNUSED_PAD src0_sel:WORD_0 src1_sel:DWORD
	v_mul_u32_u24_sdwa v42, v43, s24 dst_sel:DWORD dst_unused:UNUSED_PAD src0_sel:WORD_1 src1_sel:DWORD
	s_waitcnt lgkmcnt(0)
	;; [unrolled: 14-line block ×3, first 2 shown]
	v_pk_fma_f16 v24, v33, v25, v24
	v_pk_fma_f16 v33, v33, v40, v41
	;; [unrolled: 1-line block ×4, first 2 shown]
	v_mul_u32_u24_sdwa v34, v46, s24 dst_sel:DWORD dst_unused:UNUSED_PAD src0_sel:WORD_0 src1_sel:DWORD
	v_mul_u32_u24_sdwa v39, v46, s24 dst_sel:DWORD dst_unused:UNUSED_PAD src0_sel:WORD_1 src1_sel:DWORD
	v_pk_fma_f16 v24, v35, v34, v24
	v_pk_fma_f16 v40, v35, v39, v33
	;; [unrolled: 1-line block ×4, first 2 shown]
	ds_read2_b64 v[33:36], v23 offset1:32
	v_mul_u32_u24_sdwa v39, v47, s24 dst_sel:DWORD dst_unused:UNUSED_PAD src0_sel:WORD_0 src1_sel:DWORD
	v_mul_u32_u24_sdwa v41, v47, s24 dst_sel:DWORD dst_unused:UNUSED_PAD src0_sel:WORD_1 src1_sel:DWORD
	s_waitcnt lgkmcnt(0)
	v_pk_fma_f16 v24, v33, v39, v24
	v_pk_fma_f16 v33, v33, v41, v40
	v_pk_fma_f16 v25, v34, v39, v25
	v_pk_fma_f16 v26, v34, v41, v26
	v_mul_u32_u24_sdwa v34, v48, s24 dst_sel:DWORD dst_unused:UNUSED_PAD src0_sel:WORD_0 src1_sel:DWORD
	v_mul_u32_u24_sdwa v39, v48, s24 dst_sel:DWORD dst_unused:UNUSED_PAD src0_sel:WORD_1 src1_sel:DWORD
	v_pk_fma_f16 v24, v35, v34, v24
	v_pk_fma_f16 v40, v35, v39, v33
	v_pk_fma_f16 v25, v36, v34, v25
	v_pk_fma_f16 v26, v36, v39, v26
	ds_read2_b64 v[33:36], v23 offset0:64 offset1:96
	v_mul_u32_u24_sdwa v39, v49, s24 dst_sel:DWORD dst_unused:UNUSED_PAD src0_sel:WORD_0 src1_sel:DWORD
	v_mul_u32_u24_sdwa v41, v49, s24 dst_sel:DWORD dst_unused:UNUSED_PAD src0_sel:WORD_1 src1_sel:DWORD
	s_waitcnt lgkmcnt(0)
	v_pk_fma_f16 v24, v33, v39, v24
	v_pk_fma_f16 v33, v33, v41, v40
	v_pk_fma_f16 v25, v34, v39, v25
	v_pk_fma_f16 v26, v34, v41, v26
	v_mul_u32_u24_sdwa v34, v50, s24 dst_sel:DWORD dst_unused:UNUSED_PAD src0_sel:WORD_0 src1_sel:DWORD
	v_mul_u32_u24_sdwa v39, v50, s24 dst_sel:DWORD dst_unused:UNUSED_PAD src0_sel:WORD_1 src1_sel:DWORD
	v_pk_fma_f16 v24, v35, v34, v24
	v_pk_fma_f16 v40, v35, v39, v33
	v_pk_fma_f16 v25, v36, v34, v25
	v_pk_fma_f16 v26, v36, v39, v26
	ds_read2_b64 v[33:36], v23 offset0:128 offset1:160
	;; [unrolled: 14-line block ×3, first 2 shown]
	s_waitcnt lgkmcnt(0)
	s_barrier
	s_load_dword s8, s[0:1], 0x4
	v_mul_u32_u24_sdwa v23, v53, s24 dst_sel:DWORD dst_unused:UNUSED_PAD src0_sel:WORD_0 src1_sel:DWORD
	v_mul_u32_u24_sdwa v39, v53, s24 dst_sel:DWORD dst_unused:UNUSED_PAD src0_sel:WORD_1 src1_sel:DWORD
	v_pk_fma_f16 v24, v33, v23, v24
	v_pk_fma_f16 v33, v33, v39, v40
	s_waitcnt lgkmcnt(0)
	s_lshl_b32 s8, s8, 5
	v_pk_fma_f16 v25, v34, v23, v25
	v_pk_fma_f16 v34, v34, v39, v26
	v_mul_u32_u24_sdwa v26, v54, s24 dst_sel:DWORD dst_unused:UNUSED_PAD src0_sel:WORD_0 src1_sel:DWORD
	v_mul_u32_u24_sdwa v39, v54, s24 dst_sel:DWORD dst_unused:UNUSED_PAD src0_sel:WORD_1 src1_sel:DWORD
	s_add_i32 s6, s8, s6
	v_pk_fma_f16 v24, v35, v26, v24
	v_pk_fma_f16 v23, v35, v39, v33
	;; [unrolled: 1-line block ×4, first 2 shown]
	s_cmp_ge_i32 s6, s28
	s_cbranch_scc1 .LBB20_11
; %bb.25:                               ;   in Loop: Header=BB20_16 Depth=1
	v_mov_b32_e32 v36, v3
	v_mov_b32_e32 v35, v4
	;; [unrolled: 1-line block ×4, first 2 shown]
	s_branch .LBB20_16
.LBB20_26:
                                        ; implicit-def: $vgpr10
                                        ; implicit-def: $vgpr6_vgpr7
.LBB20_27:
	v_ashrrev_i32_e32 v6, 31, v5
	v_lshlrev_b64 v[6:7], 2, v[5:6]
	v_mov_b32_e32 v10, s17
	v_add_co_u32_e32 v6, vcc, s16, v6
	v_addc_co_u32_e32 v7, vcc, v10, v7, vcc
	global_load_dwordx2 v[6:7], v[6:7], off
	v_max_f32_e32 v10, v3, v3
	v_max_f32_e32 v11, v4, v4
	s_mov_b32 s0, 0x3fb8aa3b
	s_mov_b32 s1, 0xc2ce8ed0
	;; [unrolled: 1-line block ×3, first 2 shown]
	v_mov_b32_e32 v12, 0x7f800000
	s_waitcnt vmcnt(0)
	v_max_f32_e32 v13, v6, v6
	v_max_f32_e32 v14, v7, v7
	;; [unrolled: 1-line block ×4, first 2 shown]
	v_sub_f32_e32 v13, v3, v10
	v_sub_f32_e32 v14, v4, v11
	v_mov_b32_e32 v3, v10
	v_sub_f32_e32 v6, v6, v10
	v_mov_b32_e32 v4, v11
	v_mul_f32_e32 v10, 0x3fb8aa3b, v13
	v_sub_f32_e32 v7, v7, v11
	v_mul_f32_e32 v11, 0x3fb8aa3b, v6
	v_fma_f32 v17, v13, s0, -v10
	v_rndne_f32_e32 v18, v10
	v_mul_f32_e32 v15, 0x3fb8aa3b, v14
	v_fma_f32 v19, v6, s0, -v11
	v_rndne_f32_e32 v20, v11
	v_fmac_f32_e32 v17, 0x32a5705f, v13
	v_sub_f32_e32 v10, v10, v18
	v_mul_f32_e32 v16, 0x3fb8aa3b, v7
	v_fma_f32 v21, v14, s0, -v15
	v_rndne_f32_e32 v22, v15
	v_fmac_f32_e32 v19, 0x32a5705f, v6
	v_sub_f32_e32 v11, v11, v20
	v_add_f32_e32 v10, v10, v17
	v_fma_f32 v27, v7, s0, -v16
	v_rndne_f32_e32 v28, v16
	v_cvt_i32_f32_e32 v18, v18
	v_fmac_f32_e32 v21, 0x32a5705f, v14
	v_sub_f32_e32 v15, v15, v22
	v_add_f32_e32 v11, v11, v19
	v_exp_f32_e32 v10, v10
	v_cvt_i32_f32_e32 v20, v20
	v_fmac_f32_e32 v27, 0x32a5705f, v7
	v_sub_f32_e32 v16, v16, v28
	v_add_f32_e32 v15, v15, v21
	v_exp_f32_e32 v11, v11
	v_cvt_i32_f32_e32 v22, v22
	v_add_f32_e32 v16, v16, v27
	v_exp_f32_e32 v15, v15
	v_cvt_i32_f32_e32 v28, v28
	v_exp_f32_e32 v16, v16
	v_ldexp_f32 v10, v10, v18
	v_cmp_ngt_f32_e32 vcc, s1, v13
	v_ldexp_f32 v11, v11, v20
	v_cndmask_b32_e32 v10, 0, v10, vcc
	v_cmp_ngt_f32_e32 vcc, s1, v6
	v_ldexp_f32 v15, v15, v22
	v_cndmask_b32_e32 v11, 0, v11, vcc
	;; [unrolled: 3-line block ×3, first 2 shown]
	v_cmp_ngt_f32_e32 vcc, s1, v7
	v_cndmask_b32_e32 v16, 0, v16, vcc
	v_cmp_nlt_f32_e32 vcc, s6, v13
	v_cndmask_b32_e32 v10, v12, v10, vcc
	v_cmp_nlt_f32_e32 vcc, s6, v6
	;; [unrolled: 2-line block ×4, first 2 shown]
	v_cndmask_b32_e32 v7, v12, v16, vcc
	v_fmac_f32_e32 v6, v1, v10
	v_cvt_f16_f32_e32 v10, v10
	v_cvt_f16_f32_e32 v12, v11
	v_fmac_f32_e32 v7, v2, v11
	v_mov_b32_e32 v1, v6
	v_mul_u32_u24_e32 v2, 0x10001, v10
	v_mul_u32_u24_e32 v10, 0x10001, v12
	v_pk_mul_f16 v24, v24, v2
	v_pk_mul_f16 v26, v26, v2
	v_pk_mul_f16 v23, v23, v10
	v_pk_mul_f16 v25, v25, v10
	v_mov_b32_e32 v2, v7
.LBB20_28:
	s_load_dword s6, s[4:5], 0xd4
	v_mov_b32_e32 v10, 1.0
	s_waitcnt lgkmcnt(0)
	s_cmp_lg_u32 s6, 1
	s_cselect_b64 s[0:1], -1, 0
	s_cmp_eq_u32 s6, 1
	s_cselect_b64 s[4:5], -1, 0
	s_and_b64 vcc, exec, s[0:1]
	s_cbranch_vccnz .LBB20_30
; %bb.29:
	v_div_scale_f32 v10, s[8:9], v1, v1, 1.0
	v_div_scale_f32 v11, vcc, 1.0, v1, 1.0
	v_rcp_f32_e32 v12, v10
	v_fma_f32 v13, -v10, v12, 1.0
	v_fmac_f32_e32 v12, v13, v12
	v_mul_f32_e32 v13, v11, v12
	v_fma_f32 v14, -v10, v13, v11
	v_fmac_f32_e32 v13, v14, v12
	v_fma_f32 v10, -v10, v13, v11
	v_div_fmas_f32 v10, v10, v12, v13
	v_div_fixup_f32 v10, v10, v1, 1.0
.LBB20_30:
	s_mul_i32 s33, s33, s2
	v_add_u32_e32 v1, s33, v8
	v_mad_u64_u32 v[11:12], s[2:3], v1, s3, v[5:6]
	v_cmp_eq_u32_e32 vcc, 0, v0
	v_cvt_f32_f16_e32 v1, v24
	v_mul_lo_u32 v0, s6, v11
	v_mov_b32_e32 v16, 0
	v_cvt_f32_f16_sdwa v5, v24 dst_sel:DWORD dst_unused:UNUSED_PAD src0_sel:WORD_1
	v_cvt_f32_f16_e32 v8, v26
	v_add_u32_e32 v0, s7, v0
	v_lshl_add_u32 v15, v0, 7, v9
	v_cvt_f32_f16_sdwa v14, v26 dst_sel:DWORD dst_unused:UNUSED_PAD src0_sel:WORD_1
	v_lshlrev_b64 v[15:16], 2, v[15:16]
	s_and_b64 s[0:1], vcc, s[0:1]
	v_mul_f32_e32 v11, v10, v1
	v_mov_b32_e32 v1, s21
	v_add_co_u32_e32 v15, vcc, s20, v15
	v_mul_f32_e32 v12, v10, v5
	v_mul_f32_e32 v13, v10, v8
	;; [unrolled: 1-line block ×3, first 2 shown]
	v_addc_co_u32_e32 v16, vcc, v1, v16, vcc
	global_store_dwordx4 v[15:16], v[11:14], off
	s_and_saveexec_b64 s[2:3], s[0:1]
	s_cbranch_execz .LBB20_32
; %bb.31:
	v_ashrrev_i32_e32 v1, 31, v0
	v_lshlrev_b64 v[10:11], 3, v[0:1]
	v_mov_b32_e32 v1, s23
	v_add_co_u32_e32 v10, vcc, s22, v10
	v_addc_co_u32_e32 v11, vcc, v1, v11, vcc
	v_mov_b32_e32 v5, v3
	global_store_dwordx2 v[10:11], v[5:6], off
.LBB20_32:
	s_or_b64 exec, exec, s[2:3]
	s_andn2_b64 vcc, exec, s[4:5]
	v_mov_b32_e32 v1, 1.0
	s_cbranch_vccnz .LBB20_34
; %bb.33:
	v_div_scale_f32 v1, s[2:3], v2, v2, 1.0
	v_div_scale_f32 v3, vcc, 1.0, v2, 1.0
	v_rcp_f32_e32 v5, v1
	v_fma_f32 v6, -v1, v5, 1.0
	v_fmac_f32_e32 v5, v6, v5
	v_mul_f32_e32 v6, v3, v5
	v_fma_f32 v8, -v1, v6, v3
	v_fmac_f32_e32 v6, v8, v5
	v_fma_f32 v1, -v1, v6, v3
	v_div_fmas_f32 v1, v1, v5, v6
	v_div_fixup_f32 v1, v1, v2, 1.0
.LBB20_34:
	v_cvt_f32_f16_e32 v5, v23
	v_cvt_f32_f16_sdwa v6, v23 dst_sel:DWORD dst_unused:UNUSED_PAD src0_sel:WORD_1
	v_cvt_f32_f16_e32 v10, v25
	v_cvt_f32_f16_sdwa v11, v25 dst_sel:DWORD dst_unused:UNUSED_PAD src0_sel:WORD_1
	v_add_u32_e32 v0, s6, v0
	v_lshl_add_u32 v2, v0, 7, v9
	v_mov_b32_e32 v3, 0
	v_mul_f32_e32 v8, v1, v5
	v_mul_f32_e32 v9, v1, v6
	;; [unrolled: 1-line block ×4, first 2 shown]
	v_lshlrev_b64 v[1:2], 2, v[2:3]
	v_mov_b32_e32 v3, s21
	v_add_co_u32_e32 v1, vcc, s20, v1
	v_addc_co_u32_e32 v2, vcc, v3, v2, vcc
	global_store_dwordx4 v[1:2], v[8:11], off
	s_and_saveexec_b64 s[2:3], s[0:1]
	s_cbranch_execz .LBB20_36
; %bb.35:
	v_ashrrev_i32_e32 v1, 31, v0
	v_lshlrev_b64 v[0:1], 3, v[0:1]
	v_mov_b32_e32 v2, s23
	v_add_co_u32_e32 v0, vcc, s22, v0
	v_addc_co_u32_e32 v1, vcc, v2, v1, vcc
	v_mov_b32_e32 v6, v4
	global_store_dwordx2 v[0:1], v[6:7], off
.LBB20_36:
	s_endpgm
	.section	.rodata,"a",@progbits
	.p2align	6, 0x0
	.amdhsa_kernel _ZL15flash_attn_tileILi192ELi128ELi1ELi16ELb1EEvPKcS1_S1_S1_S1_PKiPfP15HIP_vector_typeIfLj2EEffffjfiS5_IjLj3EEiiiiiiiiiiiliiliiiiil
		.amdhsa_group_segment_fixed_size 11776
		.amdhsa_private_segment_fixed_size 0
		.amdhsa_kernarg_size 464
		.amdhsa_user_sgpr_count 6
		.amdhsa_user_sgpr_private_segment_buffer 1
		.amdhsa_user_sgpr_dispatch_ptr 0
		.amdhsa_user_sgpr_queue_ptr 0
		.amdhsa_user_sgpr_kernarg_segment_ptr 1
		.amdhsa_user_sgpr_dispatch_id 0
		.amdhsa_user_sgpr_flat_scratch_init 0
		.amdhsa_user_sgpr_private_segment_size 0
		.amdhsa_uses_dynamic_stack 0
		.amdhsa_system_sgpr_private_segment_wavefront_offset 0
		.amdhsa_system_sgpr_workgroup_id_x 1
		.amdhsa_system_sgpr_workgroup_id_y 1
		.amdhsa_system_sgpr_workgroup_id_z 1
		.amdhsa_system_sgpr_workgroup_info 0
		.amdhsa_system_vgpr_workitem_id 1
		.amdhsa_next_free_vgpr 60
		.amdhsa_next_free_sgpr 98
		.amdhsa_reserve_vcc 1
		.amdhsa_reserve_flat_scratch 0
		.amdhsa_float_round_mode_32 0
		.amdhsa_float_round_mode_16_64 0
		.amdhsa_float_denorm_mode_32 3
		.amdhsa_float_denorm_mode_16_64 3
		.amdhsa_dx10_clamp 1
		.amdhsa_ieee_mode 1
		.amdhsa_fp16_overflow 0
		.amdhsa_exception_fp_ieee_invalid_op 0
		.amdhsa_exception_fp_denorm_src 0
		.amdhsa_exception_fp_ieee_div_zero 0
		.amdhsa_exception_fp_ieee_overflow 0
		.amdhsa_exception_fp_ieee_underflow 0
		.amdhsa_exception_fp_ieee_inexact 0
		.amdhsa_exception_int_div_zero 0
	.end_amdhsa_kernel
	.section	.text._ZL15flash_attn_tileILi192ELi128ELi1ELi16ELb1EEvPKcS1_S1_S1_S1_PKiPfP15HIP_vector_typeIfLj2EEffffjfiS5_IjLj3EEiiiiiiiiiiiliiliiiiil,"axG",@progbits,_ZL15flash_attn_tileILi192ELi128ELi1ELi16ELb1EEvPKcS1_S1_S1_S1_PKiPfP15HIP_vector_typeIfLj2EEffffjfiS5_IjLj3EEiiiiiiiiiiiliiliiiiil,comdat
.Lfunc_end20:
	.size	_ZL15flash_attn_tileILi192ELi128ELi1ELi16ELb1EEvPKcS1_S1_S1_S1_PKiPfP15HIP_vector_typeIfLj2EEffffjfiS5_IjLj3EEiiiiiiiiiiiliiliiiiil, .Lfunc_end20-_ZL15flash_attn_tileILi192ELi128ELi1ELi16ELb1EEvPKcS1_S1_S1_S1_PKiPfP15HIP_vector_typeIfLj2EEffffjfiS5_IjLj3EEiiiiiiiiiiiliiliiiiil
                                        ; -- End function
	.set _ZL15flash_attn_tileILi192ELi128ELi1ELi16ELb1EEvPKcS1_S1_S1_S1_PKiPfP15HIP_vector_typeIfLj2EEffffjfiS5_IjLj3EEiiiiiiiiiiiliiliiiiil.num_vgpr, 60
	.set _ZL15flash_attn_tileILi192ELi128ELi1ELi16ELb1EEvPKcS1_S1_S1_S1_PKiPfP15HIP_vector_typeIfLj2EEffffjfiS5_IjLj3EEiiiiiiiiiiiliiliiiiil.num_agpr, 0
	.set _ZL15flash_attn_tileILi192ELi128ELi1ELi16ELb1EEvPKcS1_S1_S1_S1_PKiPfP15HIP_vector_typeIfLj2EEffffjfiS5_IjLj3EEiiiiiiiiiiiliiliiiiil.numbered_sgpr, 44
	.set _ZL15flash_attn_tileILi192ELi128ELi1ELi16ELb1EEvPKcS1_S1_S1_S1_PKiPfP15HIP_vector_typeIfLj2EEffffjfiS5_IjLj3EEiiiiiiiiiiiliiliiiiil.num_named_barrier, 0
	.set _ZL15flash_attn_tileILi192ELi128ELi1ELi16ELb1EEvPKcS1_S1_S1_S1_PKiPfP15HIP_vector_typeIfLj2EEffffjfiS5_IjLj3EEiiiiiiiiiiiliiliiiiil.private_seg_size, 0
	.set _ZL15flash_attn_tileILi192ELi128ELi1ELi16ELb1EEvPKcS1_S1_S1_S1_PKiPfP15HIP_vector_typeIfLj2EEffffjfiS5_IjLj3EEiiiiiiiiiiiliiliiiiil.uses_vcc, 1
	.set _ZL15flash_attn_tileILi192ELi128ELi1ELi16ELb1EEvPKcS1_S1_S1_S1_PKiPfP15HIP_vector_typeIfLj2EEffffjfiS5_IjLj3EEiiiiiiiiiiiliiliiiiil.uses_flat_scratch, 0
	.set _ZL15flash_attn_tileILi192ELi128ELi1ELi16ELb1EEvPKcS1_S1_S1_S1_PKiPfP15HIP_vector_typeIfLj2EEffffjfiS5_IjLj3EEiiiiiiiiiiiliiliiiiil.has_dyn_sized_stack, 0
	.set _ZL15flash_attn_tileILi192ELi128ELi1ELi16ELb1EEvPKcS1_S1_S1_S1_PKiPfP15HIP_vector_typeIfLj2EEffffjfiS5_IjLj3EEiiiiiiiiiiiliiliiiiil.has_recursion, 0
	.set _ZL15flash_attn_tileILi192ELi128ELi1ELi16ELb1EEvPKcS1_S1_S1_S1_PKiPfP15HIP_vector_typeIfLj2EEffffjfiS5_IjLj3EEiiiiiiiiiiiliiliiiiil.has_indirect_call, 0
	.section	.AMDGPU.csdata,"",@progbits
; Kernel info:
; codeLenInByte = 8704
; TotalNumSgprs: 48
; NumVgprs: 60
; ScratchSize: 0
; MemoryBound: 0
; FloatMode: 240
; IeeeMode: 1
; LDSByteSize: 11776 bytes/workgroup (compile time only)
; SGPRBlocks: 12
; VGPRBlocks: 14
; NumSGPRsForWavesPerEU: 102
; NumVGPRsForWavesPerEU: 60
; Occupancy: 4
; WaveLimiterHint : 1
; COMPUTE_PGM_RSRC2:SCRATCH_EN: 0
; COMPUTE_PGM_RSRC2:USER_SGPR: 6
; COMPUTE_PGM_RSRC2:TRAP_HANDLER: 0
; COMPUTE_PGM_RSRC2:TGID_X_EN: 1
; COMPUTE_PGM_RSRC2:TGID_Y_EN: 1
; COMPUTE_PGM_RSRC2:TGID_Z_EN: 1
; COMPUTE_PGM_RSRC2:TIDIG_COMP_CNT: 1
	.section	.text._ZL15flash_attn_tileILi192ELi128ELi4ELi8ELb1EEvPKcS1_S1_S1_S1_PKiPfP15HIP_vector_typeIfLj2EEffffjfiS5_IjLj3EEiiiiiiiiiiiliiliiiiil,"axG",@progbits,_ZL15flash_attn_tileILi192ELi128ELi4ELi8ELb1EEvPKcS1_S1_S1_S1_PKiPfP15HIP_vector_typeIfLj2EEffffjfiS5_IjLj3EEiiiiiiiiiiiliiliiiiil,comdat
	.globl	_ZL15flash_attn_tileILi192ELi128ELi4ELi8ELb1EEvPKcS1_S1_S1_S1_PKiPfP15HIP_vector_typeIfLj2EEffffjfiS5_IjLj3EEiiiiiiiiiiiliiliiiiil ; -- Begin function _ZL15flash_attn_tileILi192ELi128ELi4ELi8ELb1EEvPKcS1_S1_S1_S1_PKiPfP15HIP_vector_typeIfLj2EEffffjfiS5_IjLj3EEiiiiiiiiiiiliiliiiiil
	.p2align	8
	.type	_ZL15flash_attn_tileILi192ELi128ELi4ELi8ELb1EEvPKcS1_S1_S1_S1_PKiPfP15HIP_vector_typeIfLj2EEffffjfiS5_IjLj3EEiiiiiiiiiiiliiliiiiil,@function
_ZL15flash_attn_tileILi192ELi128ELi4ELi8ELb1EEvPKcS1_S1_S1_S1_PKiPfP15HIP_vector_typeIfLj2EEffffjfiS5_IjLj3EEiiiiiiiiiiiliiliiiiil: ; @_ZL15flash_attn_tileILi192ELi128ELi4ELi8ELb1EEvPKcS1_S1_S1_S1_PKiPfP15HIP_vector_typeIfLj2EEffffjfiS5_IjLj3EEiiiiiiiiiiiliiliiiiil
; %bb.0:
	s_load_dwordx4 s[0:3], s[4:5], 0x5c
	s_load_dwordx2 s[28:29], s[4:5], 0x80
	s_load_dwordx2 s[34:35], s[4:5], 0xb8
	s_mov_b64 s[30:31], 0
	s_waitcnt lgkmcnt(0)
	s_ashr_i32 s9, s3, 31
	s_lshr_b32 s9, s9, 29
	s_add_i32 s9, s3, s9
	s_ashr_i32 s9, s9, 3
	v_cvt_f32_u32_e32 v2, s9
	s_sub_i32 s10, 0, s9
	v_rcp_iflag_f32_e32 v2, v2
	v_mul_f32_e32 v2, 0x4f7ffffe, v2
	v_cvt_u32_f32_e32 v2, v2
	v_readfirstlane_b32 s11, v2
	s_mul_i32 s10, s10, s11
	s_mul_hi_u32 s10, s11, s10
	s_add_i32 s11, s11, s10
	s_mul_hi_u32 s10, s8, s11
	s_mul_i32 s11, s10, s9
	s_sub_i32 s11, s8, s11
	s_add_i32 s12, s10, 1
	s_sub_i32 s13, s11, s9
	s_cmp_ge_u32 s11, s9
	s_cselect_b32 s10, s12, s10
	s_cselect_b32 s11, s13, s11
	s_add_i32 s12, s10, 1
	s_cmp_ge_u32 s11, s9
	s_cselect_b32 s33, s12, s10
	s_abs_i32 s9, s29
	v_cvt_f32_u32_e32 v2, s9
	s_lshl_b32 s8, s8, 3
	s_mul_i32 s12, s33, s3
	s_xor_b32 s10, s3, s29
	v_rcp_iflag_f32_e32 v2, v2
	s_sub_i32 s13, 0, s9
	s_sub_i32 s29, s8, s12
	s_abs_i32 s11, s3
	v_mul_f32_e32 v2, 0x4f7ffffe, v2
	v_cvt_u32_f32_e32 v2, v2
	s_ashr_i32 s10, s10, 31
	v_readfirstlane_b32 s8, v2
	s_mul_i32 s13, s13, s8
	s_mul_hi_u32 s12, s8, s13
	s_add_i32 s8, s8, s12
	s_mul_hi_u32 s8, s11, s8
	s_mul_i32 s12, s8, s9
	s_sub_i32 s11, s11, s12
	s_add_i32 s13, s8, 1
	s_sub_i32 s12, s11, s9
	s_cmp_ge_u32 s11, s9
	s_cselect_b32 s8, s13, s8
	s_cselect_b32 s11, s12, s11
	s_add_i32 s12, s8, 1
	s_cmp_ge_u32 s11, s9
	s_cselect_b32 s8, s12, s8
	s_xor_b32 s8, s8, s10
	s_sub_i32 s37, s8, s10
	s_abs_i32 s36, s37
	v_cvt_f32_u32_e32 v2, s36
	s_load_dwordx16 s[8:23], s[4:5], 0x0
	v_rcp_iflag_f32_e32 v2, v2
	s_waitcnt lgkmcnt(0)
	s_cmp_eq_u64 s[14:15], 0
	v_mul_f32_e32 v2, 0x4f7ffffe, v2
	v_cvt_u32_f32_e32 v2, v2
	v_readfirstlane_b32 s24, v2
	s_cbranch_scc1 .LBB21_2
; %bb.1:
	s_abs_i32 s25, s34
	v_cvt_f32_u32_e32 v2, s25
	s_sub_i32 s34, 0, s25
	s_abs_i32 s31, s33
	s_ashr_i32 s30, s33, 31
	v_rcp_iflag_f32_e32 v2, v2
	s_load_dwordx2 s[26:27], s[4:5], 0xc8
	v_mul_f32_e32 v2, 0x4f7ffffe, v2
	v_cvt_u32_f32_e32 v2, v2
	v_readfirstlane_b32 s38, v2
	s_mul_i32 s34, s34, s38
	s_mul_hi_u32 s34, s38, s34
	s_add_i32 s38, s38, s34
	s_mul_hi_u32 s34, s31, s38
	s_mul_i32 s34, s34, s25
	s_sub_i32 s31, s31, s34
	s_sub_i32 s34, s31, s25
	s_cmp_ge_u32 s31, s25
	s_cselect_b32 s31, s34, s31
	s_sub_i32 s34, s31, s25
	s_cmp_ge_u32 s31, s25
	s_cselect_b32 s25, s34, s31
	s_xor_b32 s25, s25, s30
	s_sub_i32 s25, s25, s30
	s_ashr_i32 s30, s25, 31
	s_waitcnt lgkmcnt(0)
	s_mul_hi_u32 s31, s26, s25
	s_mul_i32 s30, s26, s30
	s_mul_i32 s27, s27, s25
	s_add_i32 s30, s31, s30
	s_add_i32 s27, s30, s27
	s_mul_i32 s25, s26, s25
	s_add_u32 s30, s14, s25
	s_addc_u32 s31, s15, s27
.LBB21_2:
	v_lshrrev_b32_e32 v2, 1, v1
	s_load_dwordx4 s[40:43], s[4:5], 0x70
	v_lshl_add_u32 v13, s6, 2, v2
	v_mul_hi_u32 v2, s0, v13
	v_lshlrev_b32_e32 v9, 2, v1
	v_and_b32_e32 v14, 4, v9
	s_waitcnt lgkmcnt(0)
	s_mul_i32 s0, s33, s42
	v_add_u32_e32 v2, v13, v2
	s_ashr_i32 s15, s0, 31
	v_lshrrev_b32_e32 v2, s1, v2
	s_mul_i32 s14, s29, s41
	s_add_u32 s0, s8, s0
	v_mul_lo_u32 v2, v2, s2
	s_addc_u32 s8, s9, s15
	s_ashr_i32 s9, s14, 31
	s_add_u32 s14, s0, s14
	s_addc_u32 s15, s8, s9
	s_ashr_i32 s1, s41, 31
	s_mov_b32 s0, s41
	s_ashr_i32 s41, s40, 31
	v_sub_u32_e32 v4, v13, v2
	s_lshr_b64 s[8:9], s[40:41], 2
	v_mad_u64_u32 v[2:3], s[8:9], s8, v4, 0
	s_lshr_b32 s8, s41, 2
	v_lshlrev_b32_e32 v11, 3, v0
	v_mad_u64_u32 v[5:6], s[8:9], s8, v4, v[3:4]
	s_lshr_b64 s[8:9], s[0:1], 2
	s_movk_i32 s0, 0x600
	v_mov_b32_e32 v3, v5
	v_lshlrev_b64 v[2:3], 2, v[2:3]
	v_mov_b32_e32 v5, s15
	v_add_co_u32_e32 v6, vcc, s14, v2
	v_addc_co_u32_e32 v7, vcc, v5, v3, vcc
	v_mad_u64_u32 v[2:3], s[14:15], s8, v14, 0
	v_lshlrev_b32_e32 v5, 4, v0
	v_add_co_u32_e32 v5, vcc, v6, v5
	v_addc_co_u32_e32 v6, vcc, 0, v7, vcc
	v_mul_i32_i24_e32 v7, s1, v14
	v_or_b32_e32 v3, v3, v7
	v_lshlrev_b64 v[2:3], 2, v[2:3]
	s_load_dword s14, s[4:5], 0x40
	v_add_co_u32_e32 v2, vcc, v5, v2
	v_addc_co_u32_e32 v3, vcc, v6, v3, vcc
	global_load_dwordx4 v[15:18], v[2:3], off
	v_mul_u32_u24_e32 v12, 0x600, v1
	v_mad_u32_u24 v10, v1, s0, v11
	v_cmp_gt_u32_e32 vcc, 16, v0
	s_waitcnt vmcnt(0) lgkmcnt(0)
	v_fma_mixlo_f16 v7, s14, v15, 0
	v_fma_mixlo_f16 v8, s14, v16, 0
	v_fma_mixlo_f16 v15, s14, v17, 0
	v_fma_mixlo_f16 v16, s14, v18, 0
	v_lshlrev_b32_e32 v8, 16, v8
	v_and_b32_e32 v7, 0xffff, v7
	v_lshlrev_b32_e32 v16, 16, v16
	v_and_b32_e32 v15, 0xffff, v15
	v_or_b32_e32 v7, v8, v7
	v_or3_b32 v8, v16, v15, 0
	v_or3_b32 v7, 0, 0, v7
	ds_write_b64 v10, v[7:8]
	s_and_saveexec_b64 s[0:1], vcc
	s_cbranch_execz .LBB21_4
; %bb.3:
	global_load_dwordx4 v[15:18], v[2:3], off offset:512
	s_waitcnt vmcnt(0)
	v_fma_mixlo_f16 v2, s14, v15, 0
	v_fma_mixlo_f16 v3, s14, v16, 0
	;; [unrolled: 1-line block ×4, first 2 shown]
	v_lshlrev_b32_e32 v3, 16, v3
	v_and_b32_e32 v2, 0xffff, v2
	v_lshlrev_b32_e32 v8, 16, v8
	v_and_b32_e32 v7, 0xffff, v7
	v_or_b32_e32 v2, v3, v2
	v_or3_b32 v3, v8, v7, 0
	v_or3_b32 v2, 0, 0, v2
	v_add_u32_e32 v7, v11, v12
	ds_write_b64 v7, v[2:3] offset:256
.LBB21_4:
	s_or_b64 exec, exec, s[0:1]
	v_or_b32_e32 v10, 1, v9
	v_and_b32_e32 v7, 5, v10
	v_mad_u64_u32 v[2:3], s[0:1], s8, v7, 0
	v_mul_u32_u24_e32 v19, 0x180, v10
	v_mad_u64_u32 v[7:8], s[0:1], s9, v7, v[3:4]
	v_mov_b32_e32 v3, v7
	v_lshlrev_b64 v[2:3], 2, v[2:3]
	v_add_co_u32_e64 v2, s[0:1], v5, v2
	v_addc_co_u32_e64 v3, s[0:1], v6, v3, s[0:1]
	global_load_dwordx4 v[15:18], v[2:3], off
	s_movk_i32 s0, 0x180
	v_mad_u32_u24 v10, v10, s0, v11
	s_waitcnt vmcnt(0)
	v_fma_mixlo_f16 v7, s14, v15, 0
	v_fma_mixlo_f16 v8, s14, v16, 0
	;; [unrolled: 1-line block ×4, first 2 shown]
	v_lshlrev_b32_e32 v8, 16, v8
	v_and_b32_e32 v7, 0xffff, v7
	v_lshlrev_b32_e32 v16, 16, v16
	v_and_b32_e32 v15, 0xffff, v15
	v_or_b32_e32 v7, v8, v7
	v_or3_b32 v8, v16, v15, 0
	v_or3_b32 v7, 0, 0, v7
	ds_write_b64 v10, v[7:8]
	v_add_u32_e32 v7, v11, v19
	s_and_saveexec_b64 s[0:1], vcc
	s_cbranch_execz .LBB21_6
; %bb.5:
	global_load_dwordx4 v[15:18], v[2:3], off offset:512
	s_waitcnt vmcnt(0)
	v_fma_mixlo_f16 v2, s14, v15, 0
	v_fma_mixlo_f16 v3, s14, v16, 0
	;; [unrolled: 1-line block ×4, first 2 shown]
	v_lshlrev_b32_e32 v3, 16, v3
	v_and_b32_e32 v2, 0xffff, v2
	v_lshlrev_b32_e32 v10, 16, v10
	v_and_b32_e32 v8, 0xffff, v8
	v_or_b32_e32 v2, v3, v2
	v_or3_b32 v3, v10, v8, 0
	v_or3_b32 v2, 0, 0, v2
	ds_write_b64 v7, v[2:3] offset:256
.LBB21_6:
	s_or_b64 exec, exec, s[0:1]
	v_or_b32_e32 v2, 2, v9
	v_and_b32_e32 v8, 6, v2
	v_mad_u64_u32 v[2:3], s[0:1], s8, v8, 0
	v_mad_u64_u32 v[15:16], s[0:1], s9, v8, v[3:4]
	v_mov_b32_e32 v3, v15
	v_lshlrev_b64 v[2:3], 2, v[2:3]
	v_add_co_u32_e64 v2, s[0:1], v5, v2
	v_addc_co_u32_e64 v3, s[0:1], v6, v3, s[0:1]
	global_load_dwordx4 v[15:18], v[2:3], off
	s_waitcnt vmcnt(0)
	v_fma_mixlo_f16 v8, s14, v15, 0
	v_fma_mixlo_f16 v10, s14, v16, 0
	v_fma_mixlo_f16 v15, s14, v17, 0
	v_fma_mixlo_f16 v16, s14, v18, 0
	v_lshlrev_b32_e32 v10, 16, v10
	v_and_b32_e32 v8, 0xffff, v8
	v_lshlrev_b32_e32 v16, 16, v16
	v_and_b32_e32 v15, 0xffff, v15
	v_or_b32_e32 v8, v10, v8
	v_or3_b32 v16, v16, v15, 0
	v_or3_b32 v15, 0, 0, v8
	ds_write_b64 v7, v[15:16] offset:384
	s_and_saveexec_b64 s[0:1], vcc
	s_cbranch_execz .LBB21_8
; %bb.7:
	global_load_dwordx4 v[15:18], v[2:3], off offset:512
	s_waitcnt vmcnt(0)
	v_fma_mixlo_f16 v2, s14, v15, 0
	v_fma_mixlo_f16 v3, s14, v16, 0
	;; [unrolled: 1-line block ×4, first 2 shown]
	v_lshlrev_b32_e32 v3, 16, v3
	v_and_b32_e32 v2, 0xffff, v2
	v_lshlrev_b32_e32 v10, 16, v10
	v_and_b32_e32 v8, 0xffff, v8
	v_or_b32_e32 v2, v3, v2
	v_or3_b32 v3, v10, v8, 0
	v_or3_b32 v2, 0, 0, v2
	ds_write_b64 v7, v[2:3] offset:640
.LBB21_8:
	s_or_b64 exec, exec, s[0:1]
	v_or_b32_e32 v2, 3, v9
	v_and_b32_e32 v8, 7, v2
	v_mad_u64_u32 v[2:3], s[0:1], s8, v8, 0
	v_mad_u64_u32 v[15:16], s[0:1], s9, v8, v[3:4]
	v_mov_b32_e32 v3, v15
	v_lshlrev_b64 v[2:3], 2, v[2:3]
	v_add_co_u32_e64 v2, s[0:1], v5, v2
	v_addc_co_u32_e64 v3, s[0:1], v6, v3, s[0:1]
	global_load_dwordx4 v[15:18], v[2:3], off
	s_waitcnt vmcnt(0)
	v_fma_mixlo_f16 v5, s14, v15, 0
	v_fma_mixlo_f16 v6, s14, v16, 0
	v_fma_mixlo_f16 v8, s14, v17, 0
	v_fma_mixlo_f16 v10, s14, v18, 0
	v_lshlrev_b32_e32 v6, 16, v6
	v_and_b32_e32 v5, 0xffff, v5
	v_lshlrev_b32_e32 v10, 16, v10
	v_and_b32_e32 v8, 0xffff, v8
	v_or_b32_e32 v5, v6, v5
	v_or3_b32 v6, v10, v8, 0
	v_or3_b32 v5, 0, 0, v5
	ds_write_b64 v7, v[5:6] offset:768
	s_and_saveexec_b64 s[0:1], vcc
	s_cbranch_execz .LBB21_10
; %bb.9:
	global_load_dwordx4 v[15:18], v[2:3], off offset:512
	s_waitcnt vmcnt(0)
	v_fma_mixlo_f16 v2, s14, v15, 0
	v_fma_mixlo_f16 v3, s14, v16, 0
	;; [unrolled: 1-line block ×4, first 2 shown]
	v_lshlrev_b32_e32 v3, 16, v3
	v_and_b32_e32 v2, 0xffff, v2
	v_lshlrev_b32_e32 v6, 16, v6
	v_and_b32_e32 v5, 0xffff, v5
	v_or_b32_e32 v2, v3, v2
	v_or3_b32 v3, v6, v5, 0
	v_or3_b32 v2, 0, 0, v2
	ds_write_b64 v7, v[2:3] offset:1024
.LBB21_10:
	s_or_b64 exec, exec, s[0:1]
	s_cmp_eq_u64 s[18:19], 0
	s_waitcnt lgkmcnt(0)
	s_barrier
	s_cbranch_scc1 .LBB21_12
; %bb.11:
	s_load_dword s0, s[4:5], 0xd0
	s_mov_b32 s1, 0
	s_waitcnt lgkmcnt(0)
	s_mul_i32 s0, s0, s33
	s_add_i32 s0, s0, s6
	s_lshl_b64 s[0:1], s[0:1], 2
	s_add_u32 s0, s18, s0
	s_addc_u32 s1, s19, s1
	s_load_dword s28, s[0:1], 0x0
.LBB21_12:
	s_lshl_b32 s6, s7, 5
	s_waitcnt lgkmcnt(0)
	s_cmp_lt_i32 s6, s28
	v_mbcnt_lo_u32_b32 v2, -1, 0
	s_cbranch_scc1 .LBB21_18
; %bb.13:
	v_mbcnt_hi_u32_b32 v10, -1, v2
	v_and_b32_e32 v3, 0x60, v10
	v_add_u32_e32 v5, 32, v3
	v_xor_b32_e32 v6, 16, v10
	v_xor_b32_e32 v7, 8, v10
	;; [unrolled: 1-line block ×5, first 2 shown]
	v_lshlrev_b32_e32 v15, 2, v0
	s_cbranch_execz .LBB21_19
; %bb.14:
	v_mov_b32_e32 v34, 0
	v_mov_b32_e32 v50, 0
	;; [unrolled: 1-line block ×16, first 2 shown]
.LBB21_15:
	v_cmp_lt_i32_e32 vcc, v6, v5
	v_cndmask_b32_e32 v6, v10, v6, vcc
	v_cmp_lt_i32_e32 vcc, v7, v5
	v_cndmask_b32_e32 v7, v10, v7, vcc
	;; [unrolled: 2-line block ×3, first 2 shown]
	v_cmp_lt_i32_e32 vcc, v48, v5
	v_lshlrev_b32_e32 v6, 2, v6
	v_cndmask_b32_e32 v12, v10, v48, vcc
	v_cmp_lt_i32_e32 vcc, v49, v5
	ds_bpermute_b32 v9, v6, v45
	v_cndmask_b32_e32 v5, v10, v49, vcc
	v_lshlrev_b32_e32 v10, 2, v12
	ds_bpermute_b32 v12, v6, v46
	ds_bpermute_b32 v19, v6, v47
	ds_bpermute_b32 v6, v6, v50
	v_lshlrev_b32_e32 v7, 2, v7
	s_waitcnt lgkmcnt(3)
	v_add_f32_e32 v9, v45, v9
	s_waitcnt lgkmcnt(2)
	v_add_f32_e32 v12, v46, v12
	s_waitcnt lgkmcnt(1)
	v_add_f32_e32 v19, v47, v19
	s_waitcnt lgkmcnt(0)
	v_add_f32_e32 v6, v50, v6
	ds_bpermute_b32 v11, v7, v9
	ds_bpermute_b32 v20, v7, v12
	ds_bpermute_b32 v21, v7, v19
	ds_bpermute_b32 v7, v7, v6
	v_lshlrev_b32_e32 v8, 2, v8
	s_waitcnt lgkmcnt(3)
	v_add_f32_e32 v9, v9, v11
	s_waitcnt lgkmcnt(2)
	v_add_f32_e32 v12, v12, v20
	s_waitcnt lgkmcnt(1)
	v_add_f32_e32 v19, v19, v21
	s_waitcnt lgkmcnt(0)
	v_add_f32_e32 v6, v6, v7
	ds_bpermute_b32 v11, v8, v9
	;; [unrolled: 13-line block ×3, first 2 shown]
	ds_bpermute_b32 v12, v10, v8
	ds_bpermute_b32 v20, v10, v19
	;; [unrolled: 1-line block ×3, first 2 shown]
	s_cmp_lg_u64 s[16:17], 0
	s_waitcnt lgkmcnt(3)
	v_add_f32_e32 v9, v9, v11
	s_waitcnt lgkmcnt(2)
	v_add_f32_e32 v8, v8, v12
	s_waitcnt lgkmcnt(1)
	v_add_f32_e32 v12, v19, v20
	s_waitcnt lgkmcnt(0)
	v_add_f32_e32 v20, v6, v7
	ds_bpermute_b32 v11, v5, v9
	ds_bpermute_b32 v10, v5, v8
	;; [unrolled: 1-line block ×4, first 2 shown]
	s_cselect_b64 s[0:1], -1, 0
	s_cmp_eq_u32 s7, 0
	s_cselect_b64 s[8:9], -1, 0
	s_and_b64 s[0:1], s[8:9], s[0:1]
	s_waitcnt lgkmcnt(3)
	v_add_f32_e32 v5, v9, v11
	s_waitcnt lgkmcnt(2)
	v_add_f32_e32 v6, v8, v10
	;; [unrolled: 2-line block ×4, first 2 shown]
	s_and_b64 vcc, exec, s[0:1]
	s_cbranch_vccz .LBB21_38
; %bb.16:
	v_add_u32_e32 v9, s29, v14
	v_ashrrev_i32_e32 v10, 31, v9
	v_lshlrev_b64 v[9:10], 2, v[9:10]
	v_mov_b32_e32 v11, s17
	v_add_co_u32_e32 v9, vcc, s16, v9
	v_addc_co_u32_e32 v10, vcc, v11, v10, vcc
	global_load_dwordx4 v[9:12], v[9:10], off
	v_max_f32_e32 v19, v1, v1
	v_max_f32_e32 v20, v2, v2
	s_mov_b32 s6, 0x3fb8aa3b
	v_max_f32_e32 v21, v3, v3
	s_mov_b32 s1, 0xc2ce8ed0
	s_mov_b32 s0, 0x42b17218
	v_mov_b32_e32 v23, 0x7f800000
	s_waitcnt vmcnt(0)
	v_max_f32_e32 v22, v9, v9
	v_max_f32_e32 v19, v19, v22
	;; [unrolled: 1-line block ×3, first 2 shown]
	v_sub_f32_e32 v1, v1, v19
	v_max_f32_e32 v20, v20, v25
	v_sub_f32_e32 v9, v9, v19
	v_mul_f32_e32 v22, 0x3fb8aa3b, v1
	v_max_f32_e32 v26, v11, v11
	v_sub_f32_e32 v2, v2, v20
	v_mul_f32_e32 v25, 0x3fb8aa3b, v9
	v_fma_f32 v31, v1, s6, -v22
	v_rndne_f32_e32 v32, v22
	v_max_f32_e32 v21, v21, v26
	v_sub_f32_e32 v10, v10, v20
	v_mul_f32_e32 v26, 0x3fb8aa3b, v2
	v_fma_f32 v33, v9, s6, -v25
	v_rndne_f32_e32 v37, v25
	v_fmac_f32_e32 v31, 0x32a5705f, v1
	v_sub_f32_e32 v22, v22, v32
	v_mul_f32_e32 v28, 0x3fb8aa3b, v10
	v_fma_f32 v38, v2, s6, -v26
	v_rndne_f32_e32 v39, v26
	v_fmac_f32_e32 v33, 0x32a5705f, v9
	v_sub_f32_e32 v25, v25, v37
	v_add_f32_e32 v22, v22, v31
	v_fma_f32 v40, v10, s6, -v28
	v_rndne_f32_e32 v41, v28
	v_cvt_i32_f32_e32 v32, v32
	v_fmac_f32_e32 v38, 0x32a5705f, v2
	v_sub_f32_e32 v26, v26, v39
	v_add_f32_e32 v25, v25, v33
	v_exp_f32_e32 v22, v22
	v_cvt_i32_f32_e32 v37, v37
	v_fmac_f32_e32 v40, 0x32a5705f, v10
	v_sub_f32_e32 v28, v28, v41
	v_add_f32_e32 v26, v26, v38
	v_exp_f32_e32 v25, v25
	v_cvt_i32_f32_e32 v39, v39
	v_add_f32_e32 v28, v28, v40
	v_exp_f32_e32 v26, v26
	v_cvt_i32_f32_e32 v41, v41
	v_exp_f32_e32 v28, v28
	v_ldexp_f32 v22, v22, v32
	v_cmp_ngt_f32_e32 vcc, s1, v1
	v_ldexp_f32 v25, v25, v37
	v_cndmask_b32_e32 v22, 0, v22, vcc
	v_cmp_ngt_f32_e32 vcc, s1, v9
	v_ldexp_f32 v26, v26, v39
	v_cndmask_b32_e32 v25, 0, v25, vcc
	;; [unrolled: 3-line block ×3, first 2 shown]
	v_cmp_ngt_f32_e32 vcc, s1, v10
	v_cndmask_b32_e32 v28, 0, v28, vcc
	v_cmp_nlt_f32_e32 vcc, s0, v1
	v_cndmask_b32_e32 v1, v23, v22, vcc
	v_cmp_nlt_f32_e32 vcc, s0, v9
	v_sub_f32_e32 v3, v3, v21
	v_cndmask_b32_e32 v9, v23, v25, vcc
	v_cmp_nlt_f32_e32 vcc, s0, v2
	v_mul_f32_e32 v29, 0x3fb8aa3b, v3
	v_cndmask_b32_e32 v2, v23, v26, vcc
	v_sub_f32_e32 v11, v11, v21
	v_fma_f32 v42, v3, s6, -v29
	v_rndne_f32_e32 v43, v29
	v_cvt_f16_f32_e32 v22, v1
	v_cvt_f16_f32_e32 v25, v2
	v_mul_f32_e32 v30, 0x3fb8aa3b, v11
	v_fmac_f32_e32 v42, 0x32a5705f, v3
	v_sub_f32_e32 v29, v29, v43
	v_fma_f32 v44, v11, s6, -v30
	v_rndne_f32_e32 v45, v30
	v_add_f32_e32 v29, v29, v42
	v_cmp_nlt_f32_e32 vcc, s0, v10
	v_cvt_i32_f32_e32 v43, v43
	v_fmac_f32_e32 v44, 0x32a5705f, v11
	v_sub_f32_e32 v30, v30, v45
	v_exp_f32_e32 v29, v29
	v_cndmask_b32_e32 v10, v23, v28, vcc
	v_add_f32_e32 v30, v30, v44
	v_fmac_f32_e32 v9, v5, v1
	v_fmac_f32_e32 v10, v6, v2
	v_mul_u32_u24_e32 v1, 0x10001, v22
	v_mul_u32_u24_e32 v2, 0x10001, v25
	v_pk_mul_f16 v34, v34, v1
	v_pk_mul_f16 v36, v36, v1
	;; [unrolled: 1-line block ×4, first 2 shown]
	v_exp_f32_e32 v1, v30
	v_cvt_i32_f32_e32 v2, v45
	v_ldexp_f32 v29, v29, v43
	v_cmp_ngt_f32_e32 vcc, s1, v3
	v_cndmask_b32_e32 v5, 0, v29, vcc
	v_cmp_nlt_f32_e32 vcc, s0, v3
	v_cndmask_b32_e32 v3, v23, v5, vcc
	v_ldexp_f32 v1, v1, v2
	v_cmp_ngt_f32_e32 vcc, s1, v11
	v_cndmask_b32_e32 v1, 0, v1, vcc
	v_cmp_nlt_f32_e32 vcc, s0, v11
	v_cndmask_b32_e32 v11, v23, v1, vcc
	v_fmac_f32_e32 v11, v7, v3
	v_cvt_f16_f32_e32 v1, v3
	v_max_f32_e32 v2, v12, v12
	v_max_f32_e32 v3, v4, v4
	;; [unrolled: 1-line block ×3, first 2 shown]
	v_sub_f32_e32 v2, v4, v22
	v_mul_f32_e32 v3, 0x3fb8aa3b, v2
	v_fma_f32 v4, v2, s6, -v3
	v_rndne_f32_e32 v5, v3
	v_fmac_f32_e32 v4, 0x32a5705f, v2
	v_sub_f32_e32 v3, v3, v5
	v_add_f32_e32 v3, v3, v4
	v_exp_f32_e32 v3, v3
	v_cvt_i32_f32_e32 v4, v5
	v_mul_u32_u24_e32 v1, 0x10001, v1
	v_pk_mul_f16 v18, v18, v1
	v_pk_mul_f16 v24, v24, v1
	v_ldexp_f32 v1, v3, v4
	v_sub_f32_e32 v3, v12, v22
	v_mul_f32_e32 v4, 0x3fb8aa3b, v3
	v_fma_f32 v5, v3, s6, -v4
	v_rndne_f32_e32 v6, v4
	v_fmac_f32_e32 v5, 0x32a5705f, v3
	v_sub_f32_e32 v4, v4, v6
	v_add_f32_e32 v4, v4, v5
	v_exp_f32_e32 v4, v4
	v_cvt_i32_f32_e32 v5, v6
	v_cmp_ngt_f32_e32 vcc, s1, v2
	v_cndmask_b32_e32 v1, 0, v1, vcc
	v_cmp_nlt_f32_e32 vcc, s0, v2
	v_cndmask_b32_e32 v1, v23, v1, vcc
	v_ldexp_f32 v2, v4, v5
	v_cvt_f16_f32_e32 v4, v1
	v_cmp_ngt_f32_e32 vcc, s1, v3
	v_cndmask_b32_e32 v2, 0, v2, vcc
	v_cmp_nlt_f32_e32 vcc, s0, v3
	v_cndmask_b32_e32 v12, v23, v2, vcc
	v_fmac_f32_e32 v12, v8, v1
	v_mul_u32_u24_e32 v1, 0x10001, v4
	v_pk_mul_f16 v17, v17, v1
	v_pk_mul_f16 v16, v16, v1
	v_mov_b32_e32 v1, v19
	v_mov_b32_e32 v2, v20
	;; [unrolled: 1-line block ×8, first 2 shown]
	v_cmp_gt_i32_e32 vcc, s2, v13
	s_and_saveexec_b64 s[0:1], vcc
	s_cbranch_execnz .LBB21_39
.LBB21_17:
	s_endpgm
.LBB21_18:
                                        ; implicit-def: $vgpr10
                                        ; implicit-def: $vgpr5
                                        ; implicit-def: $vgpr6
                                        ; implicit-def: $vgpr7
                                        ; implicit-def: $vgpr8
                                        ; implicit-def: $vgpr48
                                        ; implicit-def: $vgpr49
	v_lshlrev_b32_e32 v15, 2, v0
.LBB21_19:
	s_sub_i32 s0, 0, s36
	s_mul_i32 s0, s0, s24
	s_mul_hi_u32 s0, s24, s0
	s_abs_i32 s19, s29
	s_add_i32 s24, s24, s0
	s_mul_hi_u32 s34, s19, s24
	s_load_dwordx4 s[24:27], s[4:5], 0x98
	s_load_dword s14, s[4:5], 0x54
	s_load_dwordx2 s[0:1], s[4:5], 0x8c
	s_ashr_i32 s38, s29, 31
	s_ashr_i32 s37, s37, 31
	s_waitcnt lgkmcnt(0)
	s_ashr_i32 s15, s26, 2
	s_ashr_i32 s26, s35, 1
	;; [unrolled: 1-line block ×4, first 2 shown]
	s_mul_hi_u32 s35, s24, s33
	s_mul_i32 s39, s24, s0
	s_add_i32 s35, s35, s39
	s_mul_i32 s25, s25, s33
	s_add_i32 s35, s35, s25
	s_mul_i32 s24, s24, s33
	s_add_u32 s10, s10, s24
	s_mul_i32 s25, s34, s36
	s_addc_u32 s11, s11, s35
	s_sub_i32 s19, s19, s25
	s_xor_b32 s24, s38, s37
	s_add_i32 s25, s34, 1
	s_sub_i32 s35, s19, s36
	s_cmp_ge_u32 s19, s36
	s_cselect_b32 s25, s25, s34
	s_cselect_b32 s19, s35, s19
	s_add_i32 s34, s25, 1
	s_cmp_ge_u32 s19, s36
	s_cselect_b32 s19, s34, s25
	s_load_dwordx2 s[8:9], s[4:5], 0xa8
	s_xor_b32 s19, s19, s24
	v_lshrrev_b32_e32 v3, 3, v0
	s_sub_i32 s19, s19, s24
	v_add_u32_e32 v3, v3, v9
	s_mul_i32 s1, s19, s1
	v_mul_lo_u32 v5, s18, v3
	s_ashr_i32 s24, s1, 31
	s_add_u32 s1, s10, s1
	s_addc_u32 s10, s11, s24
	s_waitcnt lgkmcnt(0)
	s_mul_hi_u32 s11, s8, s33
	s_mul_i32 s0, s8, s0
	v_and_b32_e32 v6, 28, v15
	s_add_i32 s0, s11, s0
	s_mul_i32 s9, s9, s33
	v_mul_u32_u24_e32 v7, 0x90, v3
	v_lshlrev_b32_e32 v3, 2, v6
	v_ashrrev_i32_e32 v6, 31, v5
	s_add_i32 s0, s0, s9
	s_mul_i32 s8, s8, s33
	v_lshlrev_b64 v[5:6], 2, v[5:6]
	s_add_u32 s8, s12, s8
	s_mul_i32 s19, s19, s27
	s_movk_i32 s11, 0x3000
	s_addc_u32 s0, s13, s0
	s_ashr_i32 s9, s19, 31
	v_add3_u32 v19, v7, v3, s11
	v_mov_b32_e32 v7, s10
	v_add_co_u32_e32 v5, vcc, s1, v5
	s_add_u32 s8, s8, s19
	v_addc_co_u32_e32 v6, vcc, v7, v6, vcc
	s_addc_u32 s9, s0, s9
	s_movk_i32 s0, 0x90
	v_add_co_u32_e32 v20, vcc, v5, v3
	v_mov_b32_e32 v3, 0x3000
	v_mad_u32_u24 v22, v0, s0, v3
	v_mov_b32_e32 v3, 0x4200
	v_lshl_add_u32 v23, v1, 8, v3
	v_lshrrev_b32_e32 v3, 4, v0
	v_mad_u64_u32 v[9:10], s[0:1], v4, s26, v[0:1]
	v_lshl_add_u32 v1, v1, 1, v3
	v_mul_lo_u32 v3, s15, v1
	v_and_b32_e32 v4, 60, v15
	v_lshlrev_b32_e32 v5, 2, v4
	v_addc_co_u32_e32 v21, vcc, 0, v6, vcc
	v_ashrrev_i32_e32 v4, 31, v3
	v_lshlrev_b64 v[3:4], 2, v[3:4]
	v_lshl_or_b32 v1, v1, 8, v5
	v_add_u32_e32 v25, 0x3000, v1
	v_mov_b32_e32 v1, s9
	v_add_co_u32_e32 v3, vcc, s8, v3
	v_addc_co_u32_e32 v1, vcc, v1, v4, vcc
	v_add_co_u32_e32 v26, vcc, v3, v5
	s_add_u32 s0, s4, 0xd0
	v_mov_b32_e32 v42, 0
	v_addc_co_u32_e32 v28, vcc, 0, v1, vcc
	s_addc_u32 s1, s5, 0
	v_mov_b32_e32 v44, 0xfeffffff
	v_mov_b32_e32 v16, 0
	;; [unrolled: 1-line block ×3, first 2 shown]
	s_mov_b32 s10, 0x3f200000
	s_mov_b32 s11, 0x3fb8aa3b
	;; [unrolled: 1-line block ×4, first 2 shown]
	v_mov_b32_e32 v30, 0xbd5c1c4e
	v_mov_b32_e32 v31, 0x3e088382
	;; [unrolled: 1-line block ×3, first 2 shown]
	s_brev_b32 s19, -2
	s_mov_b32 s24, 0x10001
	v_mov_b32_e32 v33, 0x7f800000
	v_mbcnt_hi_u32_b32 v10, -1, v2
	v_mov_b32_e32 v17, 0
	v_mov_b32_e32 v24, 0
	;; [unrolled: 1-line block ×13, first 2 shown]
.LBB21_20:                              ; =>This Inner Loop Header: Depth=1
	s_mul_hi_i32 s9, s6, s18
	s_mul_i32 s8, s6, s18
	s_lshl_b64 s[8:9], s[8:9], 2
	v_mov_b32_e32 v2, s9
	v_add_co_u32_e32 v1, vcc, s8, v20
	v_addc_co_u32_e32 v2, vcc, v21, v2, vcc
	global_load_dwordx4 v[3:6], v[1:2], off
	v_mov_b32_e32 v48, 0
	v_mov_b32_e32 v47, 0
	;; [unrolled: 1-line block ×4, first 2 shown]
	s_waitcnt vmcnt(0)
	ds_write_b128 v19, v[3:6]
	s_waitcnt lgkmcnt(0)
	s_barrier
	ds_read_b128 v[3:6], v22
	ds_read_b128 v[49:52], v12
	ds_read_b128 v[53:56], v12 offset:384
	ds_read_b128 v[57:60], v12 offset:768
	ds_read_b128 v[61:64], v12 offset:1152
	s_waitcnt lgkmcnt(3)
	;;#ASMSTART
	v_dot2_f32_f16 v48, v3, v49, v48
	;;#ASMEND
	;;#ASMSTART
	v_dot2_f32_f16 v48, v4, v50, v48
	;;#ASMEND
	;;#ASMSTART
	v_dot2_f32_f16 v48, v5, v51, v48
	;;#ASMEND
	;;#ASMSTART
	v_dot2_f32_f16 v48, v6, v52, v48
	;;#ASMEND
	s_waitcnt lgkmcnt(2)
	;;#ASMSTART
	v_dot2_f32_f16 v47, v3, v53, v47
	;;#ASMEND
	;;#ASMSTART
	v_dot2_f32_f16 v47, v4, v54, v47
	;;#ASMEND
	;;#ASMSTART
	v_dot2_f32_f16 v47, v5, v55, v47
	;;#ASMEND
	;;#ASMSTART
	v_dot2_f32_f16 v47, v6, v56, v47
	;;#ASMEND
	s_waitcnt lgkmcnt(1)
	;;#ASMSTART
	v_dot2_f32_f16 v46, v3, v57, v46
	;;#ASMEND
	;;#ASMSTART
	v_dot2_f32_f16 v46, v4, v58, v46
	;;#ASMEND
	;;#ASMSTART
	v_dot2_f32_f16 v46, v5, v59, v46
	;;#ASMEND
	;;#ASMSTART
	v_dot2_f32_f16 v46, v6, v60, v46
	;;#ASMEND
	s_waitcnt lgkmcnt(0)
	;;#ASMSTART
	v_dot2_f32_f16 v45, v3, v61, v45
	;;#ASMEND
	;;#ASMSTART
	v_dot2_f32_f16 v45, v4, v62, v45
	;;#ASMEND
	;;#ASMSTART
	v_dot2_f32_f16 v45, v5, v63, v45
	;;#ASMEND
	;;#ASMSTART
	v_dot2_f32_f16 v45, v6, v64, v45
	;;#ASMEND
	ds_read_b128 v[3:6], v22 offset:16
	ds_read_b128 v[49:52], v12 offset:16
	ds_read_b128 v[53:56], v12 offset:400
	ds_read_b128 v[57:60], v12 offset:784
	ds_read_b128 v[61:64], v12 offset:1168
	s_waitcnt lgkmcnt(3)
	;;#ASMSTART
	v_dot2_f32_f16 v48, v3, v49, v48
	;;#ASMEND
	;;#ASMSTART
	v_dot2_f32_f16 v48, v4, v50, v48
	;;#ASMEND
	;;#ASMSTART
	v_dot2_f32_f16 v48, v5, v51, v48
	;;#ASMEND
	;;#ASMSTART
	v_dot2_f32_f16 v48, v6, v52, v48
	;;#ASMEND
	s_waitcnt lgkmcnt(2)
	;;#ASMSTART
	v_dot2_f32_f16 v47, v3, v53, v47
	;;#ASMEND
	;;#ASMSTART
	v_dot2_f32_f16 v47, v4, v54, v47
	;;#ASMEND
	;;#ASMSTART
	v_dot2_f32_f16 v47, v5, v55, v47
	;;#ASMEND
	;;#ASMSTART
	v_dot2_f32_f16 v47, v6, v56, v47
	;;#ASMEND
	s_waitcnt lgkmcnt(1)
	;;#ASMSTART
	v_dot2_f32_f16 v46, v3, v57, v46
	;;#ASMEND
	;;#ASMSTART
	v_dot2_f32_f16 v46, v4, v58, v46
	;;#ASMEND
	;;#ASMSTART
	v_dot2_f32_f16 v46, v5, v59, v46
	;;#ASMEND
	;;#ASMSTART
	v_dot2_f32_f16 v46, v6, v60, v46
	;;#ASMEND
	s_waitcnt lgkmcnt(0)
	;;#ASMSTART
	v_dot2_f32_f16 v45, v3, v61, v45
	;;#ASMEND
	;;#ASMSTART
	v_dot2_f32_f16 v45, v4, v62, v45
	;;#ASMEND
	;;#ASMSTART
	v_dot2_f32_f16 v45, v5, v63, v45
	;;#ASMEND
	;;#ASMSTART
	v_dot2_f32_f16 v45, v6, v64, v45
	;;#ASMEND
	ds_read_b128 v[3:6], v22 offset:32
	ds_read_b128 v[49:52], v12 offset:32
	;; [unrolled: 57-line block ×7, first 2 shown]
	ds_read_b128 v[53:56], v12 offset:496
	ds_read_b128 v[57:60], v12 offset:880
	ds_read_b128 v[61:64], v12 offset:1264
	s_waitcnt lgkmcnt(3)
	;;#ASMSTART
	v_dot2_f32_f16 v48, v3, v49, v48
	;;#ASMEND
	;;#ASMSTART
	v_dot2_f32_f16 v48, v4, v50, v48
	;;#ASMEND
	;;#ASMSTART
	v_dot2_f32_f16 v48, v5, v51, v48
	;;#ASMEND
	;;#ASMSTART
	v_dot2_f32_f16 v48, v6, v52, v48
	;;#ASMEND
	s_waitcnt lgkmcnt(2)
	;;#ASMSTART
	v_dot2_f32_f16 v47, v3, v53, v47
	;;#ASMEND
	;;#ASMSTART
	v_dot2_f32_f16 v47, v4, v54, v47
	;;#ASMEND
	;;#ASMSTART
	v_dot2_f32_f16 v47, v5, v55, v47
	;;#ASMEND
	;;#ASMSTART
	v_dot2_f32_f16 v47, v6, v56, v47
	;;#ASMEND
	;; [unrolled: 13-line block ×4, first 2 shown]
	s_barrier
	global_load_dwordx4 v[3:6], v[1:2], off offset:128
	s_waitcnt vmcnt(0)
	ds_write_b128 v19, v[3:6]
	s_waitcnt lgkmcnt(0)
	s_barrier
	ds_read_b128 v[3:6], v22
	ds_read_b128 v[49:52], v12 offset:128
	ds_read_b128 v[53:56], v12 offset:512
	ds_read_b128 v[57:60], v12 offset:896
	ds_read_b128 v[61:64], v12 offset:1280
	s_waitcnt lgkmcnt(3)
	;;#ASMSTART
	v_dot2_f32_f16 v48, v3, v49, v48
	;;#ASMEND
	;;#ASMSTART
	v_dot2_f32_f16 v48, v4, v50, v48
	;;#ASMEND
	;;#ASMSTART
	v_dot2_f32_f16 v48, v5, v51, v48
	;;#ASMEND
	;;#ASMSTART
	v_dot2_f32_f16 v48, v6, v52, v48
	;;#ASMEND
	s_waitcnt lgkmcnt(2)
	;;#ASMSTART
	v_dot2_f32_f16 v47, v3, v53, v47
	;;#ASMEND
	;;#ASMSTART
	v_dot2_f32_f16 v47, v4, v54, v47
	;;#ASMEND
	;;#ASMSTART
	v_dot2_f32_f16 v47, v5, v55, v47
	;;#ASMEND
	;;#ASMSTART
	v_dot2_f32_f16 v47, v6, v56, v47
	;;#ASMEND
	s_waitcnt lgkmcnt(1)
	;;#ASMSTART
	v_dot2_f32_f16 v46, v3, v57, v46
	;;#ASMEND
	;;#ASMSTART
	v_dot2_f32_f16 v46, v4, v58, v46
	;;#ASMEND
	;;#ASMSTART
	v_dot2_f32_f16 v46, v5, v59, v46
	;;#ASMEND
	;;#ASMSTART
	v_dot2_f32_f16 v46, v6, v60, v46
	;;#ASMEND
	s_waitcnt lgkmcnt(0)
	;;#ASMSTART
	v_dot2_f32_f16 v45, v3, v61, v45
	;;#ASMEND
	;;#ASMSTART
	v_dot2_f32_f16 v45, v4, v62, v45
	;;#ASMEND
	;;#ASMSTART
	v_dot2_f32_f16 v45, v5, v63, v45
	;;#ASMEND
	;;#ASMSTART
	v_dot2_f32_f16 v45, v6, v64, v45
	;;#ASMEND
	ds_read_b128 v[3:6], v22 offset:16
	ds_read_b128 v[49:52], v12 offset:144
	ds_read_b128 v[53:56], v12 offset:528
	ds_read_b128 v[57:60], v12 offset:912
	ds_read_b128 v[61:64], v12 offset:1296
	s_waitcnt lgkmcnt(3)
	;;#ASMSTART
	v_dot2_f32_f16 v48, v3, v49, v48
	;;#ASMEND
	;;#ASMSTART
	v_dot2_f32_f16 v48, v4, v50, v48
	;;#ASMEND
	;;#ASMSTART
	v_dot2_f32_f16 v48, v5, v51, v48
	;;#ASMEND
	;;#ASMSTART
	v_dot2_f32_f16 v48, v6, v52, v48
	;;#ASMEND
	s_waitcnt lgkmcnt(2)
	;;#ASMSTART
	v_dot2_f32_f16 v47, v3, v53, v47
	;;#ASMEND
	;;#ASMSTART
	v_dot2_f32_f16 v47, v4, v54, v47
	;;#ASMEND
	;;#ASMSTART
	v_dot2_f32_f16 v47, v5, v55, v47
	;;#ASMEND
	;;#ASMSTART
	v_dot2_f32_f16 v47, v6, v56, v47
	;;#ASMEND
	s_waitcnt lgkmcnt(1)
	;;#ASMSTART
	v_dot2_f32_f16 v46, v3, v57, v46
	;;#ASMEND
	;;#ASMSTART
	v_dot2_f32_f16 v46, v4, v58, v46
	;;#ASMEND
	;;#ASMSTART
	v_dot2_f32_f16 v46, v5, v59, v46
	;;#ASMEND
	;;#ASMSTART
	v_dot2_f32_f16 v46, v6, v60, v46
	;;#ASMEND
	s_waitcnt lgkmcnt(0)
	;;#ASMSTART
	v_dot2_f32_f16 v45, v3, v61, v45
	;;#ASMEND
	;;#ASMSTART
	v_dot2_f32_f16 v45, v4, v62, v45
	;;#ASMEND
	;;#ASMSTART
	v_dot2_f32_f16 v45, v5, v63, v45
	;;#ASMEND
	;;#ASMSTART
	v_dot2_f32_f16 v45, v6, v64, v45
	;;#ASMEND
	ds_read_b128 v[3:6], v22 offset:32
	;; [unrolled: 57-line block ×7, first 2 shown]
	ds_read_b128 v[49:52], v12 offset:240
	ds_read_b128 v[53:56], v12 offset:624
	;; [unrolled: 1-line block ×4, first 2 shown]
	s_waitcnt lgkmcnt(3)
	;;#ASMSTART
	v_dot2_f32_f16 v48, v3, v49, v48
	;;#ASMEND
	;;#ASMSTART
	v_dot2_f32_f16 v48, v4, v50, v48
	;;#ASMEND
	;;#ASMSTART
	v_dot2_f32_f16 v48, v5, v51, v48
	;;#ASMEND
	;;#ASMSTART
	v_dot2_f32_f16 v48, v6, v52, v48
	;;#ASMEND
	s_waitcnt lgkmcnt(2)
	;;#ASMSTART
	v_dot2_f32_f16 v47, v3, v53, v47
	;;#ASMEND
	;;#ASMSTART
	v_dot2_f32_f16 v47, v4, v54, v47
	;;#ASMEND
	;;#ASMSTART
	v_dot2_f32_f16 v47, v5, v55, v47
	;;#ASMEND
	;;#ASMSTART
	v_dot2_f32_f16 v47, v6, v56, v47
	;;#ASMEND
	;; [unrolled: 13-line block ×4, first 2 shown]
	s_barrier
	global_load_dwordx4 v[1:4], v[1:2], off offset:256
	v_add_u32_e32 v61, s6, v9
	v_ashrrev_i32_e32 v62, 31, v61
	v_lshlrev_b64 v[61:62], 1, v[61:62]
	v_add_co_u32_e32 v61, vcc, s30, v61
	v_addc_co_u32_e32 v62, vcc, v29, v62, vcc
	s_waitcnt vmcnt(0)
	ds_write_b128 v19, v[1:4]
	s_waitcnt lgkmcnt(0)
	s_barrier
	ds_read_b128 v[1:4], v22
	ds_read_b128 v[5:8], v12 offset:256
	ds_read_b128 v[49:52], v12 offset:640
	ds_read_b128 v[53:56], v12 offset:1024
	ds_read_b128 v[57:60], v12 offset:1408
	s_waitcnt lgkmcnt(3)
	;;#ASMSTART
	v_dot2_f32_f16 v48, v1, v5, v48
	;;#ASMEND
	;;#ASMSTART
	v_dot2_f32_f16 v48, v2, v6, v48
	;;#ASMEND
	;;#ASMSTART
	v_dot2_f32_f16 v48, v3, v7, v48
	;;#ASMEND
	;;#ASMSTART
	v_dot2_f32_f16 v48, v4, v8, v48
	;;#ASMEND
	s_waitcnt lgkmcnt(2)
	;;#ASMSTART
	v_dot2_f32_f16 v47, v1, v49, v47
	;;#ASMEND
	;;#ASMSTART
	v_dot2_f32_f16 v47, v2, v50, v47
	;;#ASMEND
	;;#ASMSTART
	v_dot2_f32_f16 v47, v3, v51, v47
	;;#ASMEND
	;;#ASMSTART
	v_dot2_f32_f16 v47, v4, v52, v47
	;;#ASMEND
	s_waitcnt lgkmcnt(1)
	;;#ASMSTART
	v_dot2_f32_f16 v46, v1, v53, v46
	;;#ASMEND
	;;#ASMSTART
	v_dot2_f32_f16 v46, v2, v54, v46
	;;#ASMEND
	;;#ASMSTART
	v_dot2_f32_f16 v46, v3, v55, v46
	;;#ASMEND
	;;#ASMSTART
	v_dot2_f32_f16 v46, v4, v56, v46
	;;#ASMEND
	s_waitcnt lgkmcnt(0)
	;;#ASMSTART
	v_dot2_f32_f16 v45, v1, v57, v45
	;;#ASMEND
	;;#ASMSTART
	v_dot2_f32_f16 v45, v2, v58, v45
	;;#ASMEND
	;;#ASMSTART
	v_dot2_f32_f16 v45, v3, v59, v45
	;;#ASMEND
	;;#ASMSTART
	v_dot2_f32_f16 v45, v4, v60, v45
	;;#ASMEND
	ds_read_b128 v[1:4], v22 offset:16
	ds_read_b128 v[5:8], v12 offset:272
	ds_read_b128 v[49:52], v12 offset:656
	ds_read_b128 v[53:56], v12 offset:1040
	ds_read_b128 v[57:60], v12 offset:1424
	s_waitcnt lgkmcnt(3)
	;;#ASMSTART
	v_dot2_f32_f16 v48, v1, v5, v48
	;;#ASMEND
	;;#ASMSTART
	v_dot2_f32_f16 v48, v2, v6, v48
	;;#ASMEND
	;;#ASMSTART
	v_dot2_f32_f16 v48, v3, v7, v48
	;;#ASMEND
	;;#ASMSTART
	v_dot2_f32_f16 v48, v4, v8, v48
	;;#ASMEND
	s_waitcnt lgkmcnt(2)
	;;#ASMSTART
	v_dot2_f32_f16 v47, v1, v49, v47
	;;#ASMEND
	;;#ASMSTART
	v_dot2_f32_f16 v47, v2, v50, v47
	;;#ASMEND
	;;#ASMSTART
	v_dot2_f32_f16 v47, v3, v51, v47
	;;#ASMEND
	;;#ASMSTART
	v_dot2_f32_f16 v47, v4, v52, v47
	;;#ASMEND
	s_waitcnt lgkmcnt(1)
	;;#ASMSTART
	v_dot2_f32_f16 v46, v1, v53, v46
	;;#ASMEND
	;;#ASMSTART
	v_dot2_f32_f16 v46, v2, v54, v46
	;;#ASMEND
	;;#ASMSTART
	v_dot2_f32_f16 v46, v3, v55, v46
	;;#ASMEND
	;;#ASMSTART
	v_dot2_f32_f16 v46, v4, v56, v46
	;;#ASMEND
	s_waitcnt lgkmcnt(0)
	;;#ASMSTART
	v_dot2_f32_f16 v45, v1, v57, v45
	;;#ASMEND
	;;#ASMSTART
	v_dot2_f32_f16 v45, v2, v58, v45
	;;#ASMEND
	;;#ASMSTART
	v_dot2_f32_f16 v45, v3, v59, v45
	;;#ASMEND
	;;#ASMSTART
	v_dot2_f32_f16 v45, v4, v60, v45
	;;#ASMEND
	ds_read_b128 v[1:4], v22 offset:32
	;; [unrolled: 57-line block ×7, first 2 shown]
	ds_read_b128 v[5:8], v12 offset:368
	ds_read_b128 v[49:52], v12 offset:752
	;; [unrolled: 1-line block ×4, first 2 shown]
	s_waitcnt lgkmcnt(3)
	;;#ASMSTART
	v_dot2_f32_f16 v48, v1, v5, v48
	;;#ASMEND
	;;#ASMSTART
	v_dot2_f32_f16 v48, v2, v6, v48
	;;#ASMEND
	;;#ASMSTART
	v_dot2_f32_f16 v48, v3, v7, v48
	;;#ASMEND
	;;#ASMSTART
	v_dot2_f32_f16 v48, v4, v8, v48
	;;#ASMEND
	s_waitcnt lgkmcnt(2)
	;;#ASMSTART
	v_dot2_f32_f16 v47, v1, v49, v47
	;;#ASMEND
	;;#ASMSTART
	v_dot2_f32_f16 v47, v2, v50, v47
	;;#ASMEND
	;;#ASMSTART
	v_dot2_f32_f16 v47, v3, v51, v47
	;;#ASMEND
	;;#ASMSTART
	v_dot2_f32_f16 v47, v4, v52, v47
	;;#ASMEND
	;; [unrolled: 13-line block ×4, first 2 shown]
	global_load_ushort v50, v[61:62], off
	v_cmp_nlt_f32_e64 s[8:9], |v48|, s10
                                        ; implicit-def: $vgpr2
	s_and_saveexec_b64 s[26:27], s[8:9]
	s_xor_b64 s[8:9], exec, s[26:27]
	s_cbranch_execz .LBB21_22
; %bb.21:                               ;   in Loop: Header=BB21_20 Depth=1
	v_add_f32_e64 v1, |v48|, |v48|
	v_mul_f32_e32 v2, 0x3fb8aa3b, v1
	v_rndne_f32_e32 v3, v2
	v_sub_f32_e32 v4, v2, v3
	v_fma_f32 v2, v1, s11, -v2
	v_fmac_f32_e32 v2, 0x32a5705f, v1
	v_add_f32_e32 v2, v4, v2
	v_cvt_i32_f32_e32 v3, v3
	v_exp_f32_e32 v2, v2
	v_cmp_ngt_f32_e32 vcc, s12, v1
	v_ldexp_f32 v2, v2, v3
	v_cndmask_b32_e32 v2, 0, v2, vcc
	v_cmp_nlt_f32_e32 vcc, s13, v1
	v_cndmask_b32_e32 v1, v33, v2, vcc
	v_add_f32_e32 v1, 1.0, v1
	v_rcp_f32_e32 v1, v1
	v_fma_f32 v2, v1, -2.0, 1.0
.LBB21_22:                              ;   in Loop: Header=BB21_20 Depth=1
	s_andn2_saveexec_b64 s[8:9], s[8:9]
; %bb.23:                               ;   in Loop: Header=BB21_20 Depth=1
	v_mul_f32_e32 v1, v48, v48
	v_mov_b32_e32 v2, 0x3ca908c9
	v_fmac_f32_e32 v2, 0xbbbac73d, v1
	v_fma_f32 v2, v1, v2, v30
	v_fma_f32 v2, v1, v2, v31
	;; [unrolled: 1-line block ×3, first 2 shown]
	v_mul_f32_e64 v2, |v48|, v2
	v_fma_f32 v2, v1, v2, |v48|
; %bb.24:                               ;   in Loop: Header=BB21_20 Depth=1
	s_or_b64 exec, exec, s[8:9]
	v_and_b32_e32 v1, 0x60, v10
	v_add_u32_e32 v5, 32, v1
	v_xor_b32_e32 v6, 16, v10
	v_bfi_b32 v2, s19, v2, v48
	v_cmp_lt_i32_e32 vcc, v6, v5
	s_waitcnt vmcnt(0)
	v_fma_mix_f32 v51, s14, v2, v50 op_sel_hi:[0,0,1]
	v_cndmask_b32_e32 v1, v10, v6, vcc
	v_add_f32_e32 v2, 0x40051340, v51
	v_max_f32_e32 v3, v44, v44
	v_lshlrev_b32_e32 v1, 2, v1
	v_max_f32_e32 v2, v3, v2
	ds_bpermute_b32 v4, v1, v2
	v_xor_b32_e32 v7, 8, v10
	v_cmp_lt_i32_e32 vcc, v7, v5
	v_cndmask_b32_e32 v3, v10, v7, vcc
	v_lshlrev_b32_e32 v3, 2, v3
	s_waitcnt lgkmcnt(0)
	v_max_f32_e32 v4, v4, v4
	v_max_f32_e32 v4, v2, v4
	ds_bpermute_b32 v48, v3, v4
	v_xor_b32_e32 v8, 4, v10
	v_cmp_lt_i32_e32 vcc, v8, v5
	v_cndmask_b32_e32 v2, v10, v8, vcc
	v_lshlrev_b32_e32 v2, 2, v2
	s_waitcnt lgkmcnt(0)
	v_max_f32_e32 v48, v48, v48
	;; [unrolled: 8-line block ×4, first 2 shown]
	v_max_f32_e32 v54, v52, v54
	ds_bpermute_b32 v55, v4, v54
	v_cmp_nlt_f32_e64 s[8:9], |v47|, s10
                                        ; implicit-def: $vgpr52
	s_and_saveexec_b64 s[26:27], s[8:9]
	s_xor_b64 s[8:9], exec, s[26:27]
	s_cbranch_execz .LBB21_26
; %bb.25:                               ;   in Loop: Header=BB21_20 Depth=1
	v_add_f32_e64 v52, |v47|, |v47|
	v_mul_f32_e32 v56, 0x3fb8aa3b, v52
	v_rndne_f32_e32 v57, v56
	v_sub_f32_e32 v58, v56, v57
	v_fma_f32 v56, v52, s11, -v56
	v_fmac_f32_e32 v56, 0x32a5705f, v52
	v_add_f32_e32 v56, v58, v56
	v_cvt_i32_f32_e32 v57, v57
	v_exp_f32_e32 v56, v56
	v_cmp_ngt_f32_e32 vcc, s12, v52
	v_ldexp_f32 v56, v56, v57
	v_cndmask_b32_e32 v56, 0, v56, vcc
	v_cmp_nlt_f32_e32 vcc, s13, v52
	v_cndmask_b32_e32 v52, v33, v56, vcc
	v_add_f32_e32 v52, 1.0, v52
	v_rcp_f32_e32 v52, v52
	v_fma_f32 v52, v52, -2.0, 1.0
.LBB21_26:                              ;   in Loop: Header=BB21_20 Depth=1
	s_andn2_saveexec_b64 s[8:9], s[8:9]
; %bb.27:                               ;   in Loop: Header=BB21_20 Depth=1
	v_mul_f32_e32 v52, v47, v47
	v_mov_b32_e32 v56, 0x3ca908c9
	v_fmac_f32_e32 v56, 0xbbbac73d, v52
	v_fma_f32 v56, v52, v56, v30
	v_fma_f32 v56, v52, v56, v31
	;; [unrolled: 1-line block ×3, first 2 shown]
	v_mul_f32_e64 v56, |v47|, v56
	v_fma_f32 v52, v52, v56, |v47|
; %bb.28:                               ;   in Loop: Header=BB21_20 Depth=1
	s_or_b64 exec, exec, s[8:9]
	v_cvt_f32_f16_e32 v50, v50
	v_bfi_b32 v47, s19, v52, v47
	v_max_f32_e32 v56, v43, v43
	v_cmp_nlt_f32_e64 s[8:9], |v46|, s10
	v_fma_f32 v52, s14, v47, v50
	v_add_f32_e32 v47, 0x40051340, v52
	v_max_f32_e32 v47, v56, v47
	ds_bpermute_b32 v56, v1, v47
	s_waitcnt lgkmcnt(0)
	v_max_f32_e32 v56, v56, v56
	v_max_f32_e32 v47, v47, v56
	ds_bpermute_b32 v56, v3, v47
	s_waitcnt lgkmcnt(0)
	v_max_f32_e32 v56, v56, v56
	;; [unrolled: 4-line block ×4, first 2 shown]
	v_max_f32_e32 v56, v47, v56
	ds_bpermute_b32 v57, v4, v56
                                        ; implicit-def: $vgpr47
	s_and_saveexec_b64 s[26:27], s[8:9]
	s_xor_b64 s[8:9], exec, s[26:27]
	s_cbranch_execz .LBB21_30
; %bb.29:                               ;   in Loop: Header=BB21_20 Depth=1
	v_add_f32_e64 v47, |v46|, |v46|
	v_mul_f32_e32 v58, 0x3fb8aa3b, v47
	v_rndne_f32_e32 v59, v58
	v_sub_f32_e32 v60, v58, v59
	v_fma_f32 v58, v47, s11, -v58
	v_fmac_f32_e32 v58, 0x32a5705f, v47
	v_add_f32_e32 v58, v60, v58
	v_cvt_i32_f32_e32 v59, v59
	v_exp_f32_e32 v58, v58
	v_cmp_ngt_f32_e32 vcc, s12, v47
	v_ldexp_f32 v58, v58, v59
	v_cndmask_b32_e32 v58, 0, v58, vcc
	v_cmp_nlt_f32_e32 vcc, s13, v47
	v_cndmask_b32_e32 v47, v33, v58, vcc
	v_add_f32_e32 v47, 1.0, v47
	v_rcp_f32_e32 v47, v47
	v_fma_f32 v47, v47, -2.0, 1.0
.LBB21_30:                              ;   in Loop: Header=BB21_20 Depth=1
	s_andn2_saveexec_b64 s[8:9], s[8:9]
; %bb.31:                               ;   in Loop: Header=BB21_20 Depth=1
	v_mul_f32_e32 v47, v46, v46
	v_mov_b32_e32 v58, 0x3ca908c9
	v_fmac_f32_e32 v58, 0xbbbac73d, v47
	v_fma_f32 v58, v47, v58, v30
	v_fma_f32 v58, v47, v58, v31
	;; [unrolled: 1-line block ×3, first 2 shown]
	v_mul_f32_e64 v58, |v46|, v58
	v_fma_f32 v47, v47, v58, |v46|
; %bb.32:                               ;   in Loop: Header=BB21_20 Depth=1
	s_or_b64 exec, exec, s[8:9]
	v_bfi_b32 v46, s19, v47, v46
	v_fma_f32 v47, s14, v46, v50
	v_add_f32_e32 v46, 0x40051340, v47
	v_max_f32_e32 v58, v41, v41
	v_max_f32_e32 v46, v58, v46
	ds_bpermute_b32 v58, v1, v46
	v_cmp_nlt_f32_e64 s[8:9], |v45|, s10
                                        ; implicit-def: $vgpr59
	s_waitcnt lgkmcnt(0)
	v_max_f32_e32 v58, v58, v58
	v_max_f32_e32 v46, v46, v58
	ds_bpermute_b32 v58, v3, v46
	s_waitcnt lgkmcnt(0)
	v_max_f32_e32 v58, v58, v58
	v_max_f32_e32 v46, v46, v58
	ds_bpermute_b32 v58, v2, v46
	;; [unrolled: 4-line block ×4, first 2 shown]
	s_and_saveexec_b64 s[26:27], s[8:9]
	s_xor_b64 s[8:9], exec, s[26:27]
	s_cbranch_execz .LBB21_34
; %bb.33:                               ;   in Loop: Header=BB21_20 Depth=1
	v_add_f32_e64 v59, |v45|, |v45|
	v_mul_f32_e32 v60, 0x3fb8aa3b, v59
	v_rndne_f32_e32 v61, v60
	v_sub_f32_e32 v62, v60, v61
	v_fma_f32 v60, v59, s11, -v60
	v_fmac_f32_e32 v60, 0x32a5705f, v59
	v_add_f32_e32 v60, v62, v60
	v_cvt_i32_f32_e32 v61, v61
	v_exp_f32_e32 v60, v60
	v_cmp_ngt_f32_e32 vcc, s12, v59
	v_ldexp_f32 v60, v60, v61
	v_cndmask_b32_e32 v60, 0, v60, vcc
	v_cmp_nlt_f32_e32 vcc, s13, v59
	v_cndmask_b32_e32 v59, v33, v60, vcc
	v_add_f32_e32 v59, 1.0, v59
	v_rcp_f32_e32 v59, v59
	v_fma_f32 v59, v59, -2.0, 1.0
.LBB21_34:                              ;   in Loop: Header=BB21_20 Depth=1
	s_andn2_saveexec_b64 s[8:9], s[8:9]
; %bb.35:                               ;   in Loop: Header=BB21_20 Depth=1
	v_mul_f32_e32 v59, v45, v45
	v_mov_b32_e32 v60, 0x3ca908c9
	v_fmac_f32_e32 v60, 0xbbbac73d, v59
	v_fma_f32 v60, v59, v60, v30
	v_fma_f32 v60, v59, v60, v31
	;; [unrolled: 1-line block ×3, first 2 shown]
	v_mul_f32_e64 v60, |v45|, v60
	v_fma_f32 v59, v59, v60, |v45|
; %bb.36:                               ;   in Loop: Header=BB21_20 Depth=1
	s_or_b64 exec, exec, s[8:9]
	v_bfi_b32 v45, s19, v59, v45
	v_fmac_f32_e32 v50, s14, v45
	v_add_f32_e32 v45, 0x40051340, v50
	v_max_f32_e32 v59, v39, v39
	v_max_f32_e32 v45, v59, v45
	ds_bpermute_b32 v1, v1, v45
	v_max_f32_e32 v57, v57, v57
	s_waitcnt lgkmcnt(1)
	v_max_f32_e32 v58, v58, v58
	v_max_f32_e32 v46, v46, v46
	;; [unrolled: 1-line block ×3, first 2 shown]
	s_waitcnt lgkmcnt(0)
	v_max_f32_e32 v1, v1, v1
	v_max_f32_e32 v1, v45, v1
	ds_bpermute_b32 v3, v3, v1
	v_max_f32_e32 v45, v56, v56
	v_max_f32_e32 v54, v54, v54
	s_mul_hi_i32 s9, s6, s15
	s_mul_i32 s8, s6, s15
	s_waitcnt lgkmcnt(0)
	v_max_f32_e32 v3, v3, v3
	v_max_f32_e32 v56, v1, v3
	ds_bpermute_b32 v59, v2, v56
	v_max_f32_e32 v2, v45, v57
	v_max_f32_e32 v3, v46, v58
	;; [unrolled: 1-line block ×3, first 2 shown]
	v_sub_f32_e32 v44, v44, v1
	s_waitcnt lgkmcnt(0)
	v_max_f32_e32 v45, v59, v59
	v_max_f32_e32 v45, v56, v45
	ds_bpermute_b32 v46, v53, v45
	v_mul_f32_e32 v53, 0x3fb8aa3b, v44
	v_fma_f32 v54, v44, s11, -v53
	v_rndne_f32_e32 v55, v53
	v_fmac_f32_e32 v54, 0x32a5705f, v44
	s_waitcnt lgkmcnt(0)
	v_max_f32_e32 v46, v46, v46
	v_max_f32_e32 v45, v45, v46
	ds_bpermute_b32 v4, v4, v45
	v_sub_f32_e32 v46, v53, v55
	v_add_f32_e32 v46, v46, v54
	v_cvt_i32_f32_e32 v53, v55
	v_exp_f32_e32 v46, v46
	s_waitcnt lgkmcnt(0)
	v_max_f32_e32 v4, v4, v4
	v_max_f32_e32 v4, v45, v4
	v_cmp_ngt_f32_e32 vcc, s12, v44
	v_ldexp_f32 v45, v46, v53
	v_sub_f32_e32 v46, v51, v1
	v_mul_f32_e32 v51, 0x3fb8aa3b, v46
	v_fma_f32 v53, v46, s11, -v51
	v_rndne_f32_e32 v54, v51
	v_fmac_f32_e32 v53, 0x32a5705f, v46
	v_sub_f32_e32 v51, v51, v54
	v_add_f32_e32 v51, v51, v53
	v_exp_f32_e32 v51, v51
	v_cvt_i32_f32_e32 v53, v54
	v_cndmask_b32_e32 v45, 0, v45, vcc
	v_cmp_nlt_f32_e32 vcc, s13, v44
	v_sub_f32_e32 v43, v43, v2
	v_cndmask_b32_e32 v44, v33, v45, vcc
	v_ldexp_f32 v45, v51, v53
	v_mul_f32_e32 v51, 0x3fb8aa3b, v43
	v_cmp_ngt_f32_e32 vcc, s12, v46
	v_fma_f32 v53, v43, s11, -v51
	v_rndne_f32_e32 v54, v51
	v_cndmask_b32_e32 v45, 0, v45, vcc
	v_cmp_nlt_f32_e32 vcc, s13, v46
	v_cvt_f16_f32_e32 v46, v44
	v_fmac_f32_e32 v53, 0x32a5705f, v43
	v_sub_f32_e32 v51, v51, v54
	v_add_f32_e32 v51, v51, v53
	v_exp_f32_e32 v51, v51
	v_cvt_i32_f32_e32 v53, v54
	v_cndmask_b32_e32 v45, v33, v45, vcc
	v_cvt_f16_f32_e32 v55, v45
	v_fmac_f32_e32 v45, v42, v44
	v_mul_u32_u24_e32 v44, 0x10001, v46
	v_sub_f32_e32 v46, v52, v2
	v_mul_f32_e32 v42, 0x3fb8aa3b, v46
	v_pk_mul_f16 v63, v36, v44
	v_ldexp_f32 v36, v51, v53
	v_fma_f32 v51, v46, s11, -v42
	v_rndne_f32_e32 v52, v42
	v_fmac_f32_e32 v51, 0x32a5705f, v46
	v_sub_f32_e32 v42, v42, v52
	v_add_f32_e32 v42, v42, v51
	v_exp_f32_e32 v42, v42
	v_cvt_i32_f32_e32 v51, v52
	v_cmp_ngt_f32_e32 vcc, s12, v43
	v_cndmask_b32_e32 v36, 0, v36, vcc
	v_cmp_nlt_f32_e32 vcc, s13, v43
	s_lshl_b64 s[8:9], s[8:9], 2
	v_cndmask_b32_e32 v36, v33, v36, vcc
	v_ldexp_f32 v56, v42, v51
	v_mov_b32_e32 v43, s9
	v_add_co_u32_e32 v42, vcc, s8, v26
	v_addc_co_u32_e32 v43, vcc, v28, v43, vcc
	s_barrier
	global_load_dwordx4 v[51:54], v[42:43], off
	v_cmp_ngt_f32_e32 vcc, s12, v46
	v_sub_f32_e32 v41, v41, v3
	v_cndmask_b32_e32 v42, 0, v56, vcc
	v_mul_f32_e32 v56, 0x3fb8aa3b, v41
	v_fma_f32 v57, v41, s11, -v56
	v_rndne_f32_e32 v58, v56
	v_fmac_f32_e32 v57, 0x32a5705f, v41
	v_sub_f32_e32 v56, v56, v58
	v_cvt_f16_f32_e32 v43, v36
	v_add_f32_e32 v56, v56, v57
	v_cmp_nlt_f32_e32 vcc, s13, v46
	v_exp_f32_e32 v56, v56
	v_cvt_i32_f32_e32 v57, v58
	v_cndmask_b32_e32 v46, v33, v42, vcc
	v_cvt_f16_f32_e32 v42, v46
	v_fmac_f32_e32 v46, v40, v36
	v_sub_f32_e32 v36, v47, v3
	v_mul_u32_u24_e32 v43, 0x10001, v43
	v_mul_f32_e32 v40, 0x3fb8aa3b, v36
	v_pk_mul_f16 v64, v35, v43
	v_ldexp_f32 v35, v56, v57
	v_fma_f32 v47, v36, s11, -v40
	v_rndne_f32_e32 v56, v40
	v_fmac_f32_e32 v47, 0x32a5705f, v36
	v_sub_f32_e32 v40, v40, v56
	v_add_f32_e32 v40, v40, v47
	v_exp_f32_e32 v40, v40
	v_cvt_i32_f32_e32 v47, v56
	v_cmp_ngt_f32_e32 vcc, s12, v41
	v_sub_f32_e32 v39, v39, v4
	v_cndmask_b32_e32 v35, 0, v35, vcc
	v_cmp_nlt_f32_e32 vcc, s13, v41
	v_mul_f32_e32 v41, 0x3fb8aa3b, v39
	v_cndmask_b32_e32 v35, v33, v35, vcc
	v_ldexp_f32 v40, v40, v47
	v_cmp_ngt_f32_e32 vcc, s12, v36
	v_fma_f32 v56, v39, s11, -v41
	v_rndne_f32_e32 v57, v41
	v_cndmask_b32_e32 v40, 0, v40, vcc
	v_cmp_nlt_f32_e32 vcc, s13, v36
	v_fmac_f32_e32 v56, 0x32a5705f, v39
	v_sub_f32_e32 v41, v41, v57
	v_cndmask_b32_e32 v47, v33, v40, vcc
	v_cvt_f16_f32_e32 v40, v35
	v_add_f32_e32 v41, v41, v56
	v_exp_f32_e32 v41, v41
	v_cvt_i32_f32_e32 v56, v57
	v_cvt_f16_f32_e32 v36, v47
	v_fmac_f32_e32 v47, v38, v35
	v_sub_f32_e32 v38, v50, v4
	v_mul_u32_u24_e32 v65, 0x10001, v40
	v_mul_f32_e32 v40, 0x3fb8aa3b, v38
	v_ldexp_f32 v35, v41, v56
	v_fma_f32 v41, v38, s11, -v40
	v_rndne_f32_e32 v50, v40
	v_fmac_f32_e32 v41, 0x32a5705f, v38
	v_sub_f32_e32 v40, v40, v50
	v_add_f32_e32 v40, v40, v41
	v_exp_f32_e32 v40, v40
	v_cvt_i32_f32_e32 v41, v50
	v_cmp_ngt_f32_e32 vcc, s12, v39
	v_cndmask_b32_e32 v35, 0, v35, vcc
	v_cmp_nlt_f32_e32 vcc, s13, v39
	v_cndmask_b32_e32 v35, v33, v35, vcc
	v_ldexp_f32 v39, v40, v41
	v_cmp_ngt_f32_e32 vcc, s12, v38
	v_cndmask_b32_e32 v39, 0, v39, vcc
	v_cmp_nlt_f32_e32 vcc, s13, v38
	v_cvt_f16_f32_e32 v40, v35
	v_cndmask_b32_e32 v50, v33, v39, vcc
	v_cvt_f16_f32_e32 v38, v50
	v_fmac_f32_e32 v50, v37, v35
	v_mul_u32_u24_e32 v35, 0x10001, v40
	v_pk_mul_f16 v66, v17, v35
	v_pk_mul_f16 v67, v16, v35
	v_add_u32_e32 v35, v23, v11
	v_pack_b32_f16 v17, v36, v38
	v_pack_b32_f16 v16, v55, v42
	ds_write_b64 v35, v[16:17]
	s_waitcnt vmcnt(0)
	ds_write_b128 v25, v[51:54]
	s_waitcnt lgkmcnt(0)
	s_barrier
	v_add_u32_e32 v17, 0x3000, v11
	ds_read_b128 v[35:38], v23
	ds_read2_b64 v[39:42], v17 offset1:32
	ds_read_b128 v[51:54], v23 offset:16
	ds_read_b128 v[55:58], v23 offset:32
	;; [unrolled: 1-line block ×3, first 2 shown]
	s_waitcnt lgkmcnt(4)
	v_mul_u32_u24_sdwa v16, v35, s24 dst_sel:DWORD dst_unused:UNUSED_PAD src0_sel:WORD_0 src1_sel:DWORD
	v_mul_u32_u24_sdwa v35, v35, s24 dst_sel:DWORD dst_unused:UNUSED_PAD src0_sel:WORD_1 src1_sel:DWORD
	s_waitcnt lgkmcnt(3)
	v_pk_mul_f16 v69, v39, v16
	v_mul_u32_u24_sdwa v68, v36, s24 dst_sel:DWORD dst_unused:UNUSED_PAD src0_sel:WORD_0 src1_sel:DWORD
	v_pk_fma_f16 v34, v34, v44, v69
	v_pk_mul_f16 v44, v39, v35
	v_pk_mul_f16 v24, v24, v65
	v_mul_u32_u24_sdwa v36, v36, s24 dst_sel:DWORD dst_unused:UNUSED_PAD src0_sel:WORD_1 src1_sel:DWORD
	v_pk_fma_f16 v27, v27, v43, v44
	v_pk_mul_f16 v43, v39, v68
	v_pk_fma_f16 v18, v18, v65, v43
	v_pk_fma_f16 v39, v39, v36, v66
	;; [unrolled: 1-line block ×6, first 2 shown]
	v_mul_u32_u24_sdwa v40, v37, s24 dst_sel:DWORD dst_unused:UNUSED_PAD src0_sel:WORD_0 src1_sel:DWORD
	v_mul_u32_u24_sdwa v37, v37, s24 dst_sel:DWORD dst_unused:UNUSED_PAD src0_sel:WORD_1 src1_sel:DWORD
	v_mul_u32_u24_sdwa v43, v38, s24 dst_sel:DWORD dst_unused:UNUSED_PAD src0_sel:WORD_0 src1_sel:DWORD
	v_mul_u32_u24_sdwa v38, v38, s24 dst_sel:DWORD dst_unused:UNUSED_PAD src0_sel:WORD_1 src1_sel:DWORD
	v_pk_fma_f16 v44, v41, v40, v34
	v_pk_fma_f16 v27, v41, v37, v27
	;; [unrolled: 1-line block ×6, first 2 shown]
	ds_read2_b64 v[34:37], v17 offset0:64 offset1:96
	v_pk_fma_f16 v18, v41, v43, v18
	v_pk_fma_f16 v24, v42, v43, v24
	s_waitcnt lgkmcnt(3)
	v_mul_u32_u24_sdwa v41, v51, s24 dst_sel:DWORD dst_unused:UNUSED_PAD src0_sel:WORD_0 src1_sel:DWORD
	v_mul_u32_u24_sdwa v42, v51, s24 dst_sel:DWORD dst_unused:UNUSED_PAD src0_sel:WORD_1 src1_sel:DWORD
	v_mul_u32_u24_sdwa v43, v52, s24 dst_sel:DWORD dst_unused:UNUSED_PAD src0_sel:WORD_0 src1_sel:DWORD
	v_mul_u32_u24_sdwa v51, v52, s24 dst_sel:DWORD dst_unused:UNUSED_PAD src0_sel:WORD_1 src1_sel:DWORD
	s_waitcnt lgkmcnt(0)
	v_pk_fma_f16 v44, v34, v41, v44
	v_pk_fma_f16 v27, v34, v42, v27
	;; [unrolled: 1-line block ×8, first 2 shown]
	v_mul_u32_u24_sdwa v38, v53, s24 dst_sel:DWORD dst_unused:UNUSED_PAD src0_sel:WORD_0 src1_sel:DWORD
	v_mul_u32_u24_sdwa v40, v53, s24 dst_sel:DWORD dst_unused:UNUSED_PAD src0_sel:WORD_1 src1_sel:DWORD
	v_mul_u32_u24_sdwa v41, v54, s24 dst_sel:DWORD dst_unused:UNUSED_PAD src0_sel:WORD_0 src1_sel:DWORD
	v_mul_u32_u24_sdwa v42, v54, s24 dst_sel:DWORD dst_unused:UNUSED_PAD src0_sel:WORD_1 src1_sel:DWORD
	v_pk_fma_f16 v43, v36, v38, v44
	v_pk_fma_f16 v27, v36, v40, v27
	;; [unrolled: 1-line block ×8, first 2 shown]
	ds_read2_b64 v[34:37], v17 offset0:128 offset1:160
	v_mul_u32_u24_sdwa v40, v55, s24 dst_sel:DWORD dst_unused:UNUSED_PAD src0_sel:WORD_0 src1_sel:DWORD
	v_mul_u32_u24_sdwa v41, v55, s24 dst_sel:DWORD dst_unused:UNUSED_PAD src0_sel:WORD_1 src1_sel:DWORD
	v_mul_u32_u24_sdwa v42, v56, s24 dst_sel:DWORD dst_unused:UNUSED_PAD src0_sel:WORD_0 src1_sel:DWORD
	v_mul_u32_u24_sdwa v51, v56, s24 dst_sel:DWORD dst_unused:UNUSED_PAD src0_sel:WORD_1 src1_sel:DWORD
	s_waitcnt lgkmcnt(0)
	v_pk_fma_f16 v43, v34, v40, v43
	v_pk_fma_f16 v27, v34, v41, v27
	;; [unrolled: 1-line block ×8, first 2 shown]
	v_mul_u32_u24_sdwa v39, v57, s24 dst_sel:DWORD dst_unused:UNUSED_PAD src0_sel:WORD_0 src1_sel:DWORD
	v_mul_u32_u24_sdwa v40, v57, s24 dst_sel:DWORD dst_unused:UNUSED_PAD src0_sel:WORD_1 src1_sel:DWORD
	v_mul_u32_u24_sdwa v41, v58, s24 dst_sel:DWORD dst_unused:UNUSED_PAD src0_sel:WORD_0 src1_sel:DWORD
	v_mul_u32_u24_sdwa v42, v58, s24 dst_sel:DWORD dst_unused:UNUSED_PAD src0_sel:WORD_1 src1_sel:DWORD
	v_pk_fma_f16 v43, v36, v39, v43
	v_pk_fma_f16 v27, v36, v40, v27
	;; [unrolled: 1-line block ×8, first 2 shown]
	ds_read2_b64 v[34:37], v17 offset0:192 offset1:224
	v_mul_u32_u24_sdwa v40, v59, s24 dst_sel:DWORD dst_unused:UNUSED_PAD src0_sel:WORD_0 src1_sel:DWORD
	v_mul_u32_u24_sdwa v41, v59, s24 dst_sel:DWORD dst_unused:UNUSED_PAD src0_sel:WORD_1 src1_sel:DWORD
	v_mul_u32_u24_sdwa v42, v60, s24 dst_sel:DWORD dst_unused:UNUSED_PAD src0_sel:WORD_0 src1_sel:DWORD
	v_mul_u32_u24_sdwa v51, v60, s24 dst_sel:DWORD dst_unused:UNUSED_PAD src0_sel:WORD_1 src1_sel:DWORD
	s_waitcnt lgkmcnt(0)
	v_pk_fma_f16 v43, v34, v40, v43
	v_pk_fma_f16 v27, v34, v41, v27
	;; [unrolled: 1-line block ×7, first 2 shown]
	v_mul_u32_u24_sdwa v39, v61, s24 dst_sel:DWORD dst_unused:UNUSED_PAD src0_sel:WORD_0 src1_sel:DWORD
	v_mul_u32_u24_sdwa v40, v61, s24 dst_sel:DWORD dst_unused:UNUSED_PAD src0_sel:WORD_1 src1_sel:DWORD
	v_mul_u32_u24_sdwa v41, v62, s24 dst_sel:DWORD dst_unused:UNUSED_PAD src0_sel:WORD_0 src1_sel:DWORD
	v_pk_fma_f16 v43, v36, v39, v43
	v_pk_fma_f16 v27, v36, v40, v27
	;; [unrolled: 1-line block ×6, first 2 shown]
	ds_read_b128 v[38:41], v23 offset:64
	v_pk_fma_f16 v34, v34, v51, v44
	v_mul_u32_u24_sdwa v42, v62, s24 dst_sel:DWORD dst_unused:UNUSED_PAD src0_sel:WORD_1 src1_sel:DWORD
	v_add_u32_e32 v16, 0x3800, v11
	v_pk_fma_f16 v44, v36, v42, v34
	v_pk_fma_f16 v42, v37, v42, v35
	ds_read2_b64 v[34:37], v16 offset1:32
	ds_read_b128 v[51:54], v23 offset:80
	s_or_b32 s8, s6, 16
	s_mul_hi_i32 s9, s8, s15
	s_mul_i32 s8, s8, s15
	s_waitcnt lgkmcnt(2)
	v_mul_u32_u24_sdwa v57, v38, s24 dst_sel:DWORD dst_unused:UNUSED_PAD src0_sel:WORD_0 src1_sel:DWORD
	v_mul_u32_u24_sdwa v38, v38, s24 dst_sel:DWORD dst_unused:UNUSED_PAD src0_sel:WORD_1 src1_sel:DWORD
	v_mul_u32_u24_sdwa v58, v39, s24 dst_sel:DWORD dst_unused:UNUSED_PAD src0_sel:WORD_0 src1_sel:DWORD
	v_mul_u32_u24_sdwa v39, v39, s24 dst_sel:DWORD dst_unused:UNUSED_PAD src0_sel:WORD_1 src1_sel:DWORD
	s_lshl_b64 s[8:9], s[8:9], 2
	s_waitcnt lgkmcnt(1)
	v_pk_fma_f16 v43, v34, v57, v43
	v_pk_fma_f16 v27, v34, v38, v27
	;; [unrolled: 1-line block ×8, first 2 shown]
	v_mov_b32_e32 v35, s9
	v_add_co_u32_e32 v34, vcc, s8, v26
	v_addc_co_u32_e32 v35, vcc, v28, v35, vcc
	v_mul_u32_u24_sdwa v77, v40, s24 dst_sel:DWORD dst_unused:UNUSED_PAD src0_sel:WORD_0 src1_sel:DWORD
	v_mul_u32_u24_sdwa v78, v40, s24 dst_sel:DWORD dst_unused:UNUSED_PAD src0_sel:WORD_1 src1_sel:DWORD
	v_mul_u32_u24_sdwa v79, v41, s24 dst_sel:DWORD dst_unused:UNUSED_PAD src0_sel:WORD_0 src1_sel:DWORD
	v_mul_u32_u24_sdwa v80, v41, s24 dst_sel:DWORD dst_unused:UNUSED_PAD src0_sel:WORD_1 src1_sel:DWORD
	ds_read2_b64 v[38:41], v16 offset0:64 offset1:96
	ds_read2_b64 v[55:58], v16 offset0:128 offset1:160
	;; [unrolled: 1-line block ×3, first 2 shown]
	ds_read_b128 v[63:66], v23 offset:96
	ds_read_b128 v[67:70], v23 offset:112
	s_waitcnt lgkmcnt(0)
	s_barrier
	global_load_dwordx4 v[71:74], v[34:35], off
	v_pk_fma_f16 v43, v36, v77, v43
	v_pk_fma_f16 v27, v36, v78, v27
	v_pk_fma_f16 v18, v36, v79, v18
	v_pk_fma_f16 v34, v36, v80, v44
	v_pk_fma_f16 v35, v37, v77, v75
	v_pk_fma_f16 v36, v37, v78, v76
	v_pk_fma_f16 v24, v37, v79, v24
	v_pk_fma_f16 v37, v37, v80, v42
	v_mul_u32_u24_sdwa v42, v51, s24 dst_sel:DWORD dst_unused:UNUSED_PAD src0_sel:WORD_0 src1_sel:DWORD
	v_mul_u32_u24_sdwa v44, v51, s24 dst_sel:DWORD dst_unused:UNUSED_PAD src0_sel:WORD_1 src1_sel:DWORD
	v_mul_u32_u24_sdwa v51, v52, s24 dst_sel:DWORD dst_unused:UNUSED_PAD src0_sel:WORD_0 src1_sel:DWORD
	v_mul_u32_u24_sdwa v52, v52, s24 dst_sel:DWORD dst_unused:UNUSED_PAD src0_sel:WORD_1 src1_sel:DWORD
	v_pk_fma_f16 v43, v38, v42, v43
	v_pk_fma_f16 v27, v38, v44, v27
	v_pk_fma_f16 v18, v38, v51, v18
	v_pk_fma_f16 v34, v38, v52, v34
	v_pk_fma_f16 v35, v39, v42, v35
	v_pk_fma_f16 v36, v39, v44, v36
	v_pk_fma_f16 v24, v39, v51, v24
	v_pk_fma_f16 v37, v39, v52, v37
	v_mul_u32_u24_sdwa v38, v53, s24 dst_sel:DWORD dst_unused:UNUSED_PAD src0_sel:WORD_0 src1_sel:DWORD
	v_mul_u32_u24_sdwa v39, v53, s24 dst_sel:DWORD dst_unused:UNUSED_PAD src0_sel:WORD_1 src1_sel:DWORD
	v_mul_u32_u24_sdwa v42, v54, s24 dst_sel:DWORD dst_unused:UNUSED_PAD src0_sel:WORD_0 src1_sel:DWORD
	v_mul_u32_u24_sdwa v44, v54, s24 dst_sel:DWORD dst_unused:UNUSED_PAD src0_sel:WORD_1 src1_sel:DWORD
	;; [unrolled: 12-line block ×6, first 2 shown]
	v_pk_fma_f16 v42, v61, v38, v42
	v_pk_fma_f16 v27, v61, v39, v27
	;; [unrolled: 1-line block ×8, first 2 shown]
	s_waitcnt vmcnt(0)
	ds_write_b128 v25, v[71:74]
	s_waitcnt lgkmcnt(0)
	s_barrier
	ds_read_b128 v[34:37], v23 offset:128
	ds_read2_b64 v[38:41], v17 offset1:32
	ds_read_b128 v[51:54], v23 offset:144
	ds_read_b128 v[55:58], v23 offset:160
	;; [unrolled: 1-line block ×3, first 2 shown]
	s_waitcnt lgkmcnt(4)
	v_mul_u32_u24_sdwa v65, v34, s24 dst_sel:DWORD dst_unused:UNUSED_PAD src0_sel:WORD_0 src1_sel:DWORD
	v_mul_u32_u24_sdwa v34, v34, s24 dst_sel:DWORD dst_unused:UNUSED_PAD src0_sel:WORD_1 src1_sel:DWORD
	v_mul_u32_u24_sdwa v66, v35, s24 dst_sel:DWORD dst_unused:UNUSED_PAD src0_sel:WORD_0 src1_sel:DWORD
	v_mul_u32_u24_sdwa v35, v35, s24 dst_sel:DWORD dst_unused:UNUSED_PAD src0_sel:WORD_1 src1_sel:DWORD
	s_waitcnt lgkmcnt(3)
	v_pk_fma_f16 v42, v38, v65, v42
	v_pk_fma_f16 v27, v38, v34, v27
	;; [unrolled: 1-line block ×8, first 2 shown]
	v_mul_u32_u24_sdwa v39, v36, s24 dst_sel:DWORD dst_unused:UNUSED_PAD src0_sel:WORD_0 src1_sel:DWORD
	v_mul_u32_u24_sdwa v36, v36, s24 dst_sel:DWORD dst_unused:UNUSED_PAD src0_sel:WORD_1 src1_sel:DWORD
	v_mul_u32_u24_sdwa v44, v37, s24 dst_sel:DWORD dst_unused:UNUSED_PAD src0_sel:WORD_0 src1_sel:DWORD
	v_mul_u32_u24_sdwa v37, v37, s24 dst_sel:DWORD dst_unused:UNUSED_PAD src0_sel:WORD_1 src1_sel:DWORD
	v_pk_fma_f16 v42, v40, v39, v42
	v_pk_fma_f16 v27, v40, v36, v27
	;; [unrolled: 1-line block ×8, first 2 shown]
	ds_read2_b64 v[34:37], v17 offset0:64 offset1:96
	s_waitcnt lgkmcnt(3)
	v_mul_u32_u24_sdwa v43, v51, s24 dst_sel:DWORD dst_unused:UNUSED_PAD src0_sel:WORD_0 src1_sel:DWORD
	v_mul_u32_u24_sdwa v44, v51, s24 dst_sel:DWORD dst_unused:UNUSED_PAD src0_sel:WORD_1 src1_sel:DWORD
	v_mul_u32_u24_sdwa v51, v52, s24 dst_sel:DWORD dst_unused:UNUSED_PAD src0_sel:WORD_0 src1_sel:DWORD
	v_mul_u32_u24_sdwa v52, v52, s24 dst_sel:DWORD dst_unused:UNUSED_PAD src0_sel:WORD_1 src1_sel:DWORD
	s_waitcnt lgkmcnt(0)
	v_pk_fma_f16 v42, v34, v43, v42
	v_pk_fma_f16 v27, v34, v44, v27
	;; [unrolled: 1-line block ×8, first 2 shown]
	v_mul_u32_u24_sdwa v40, v53, s24 dst_sel:DWORD dst_unused:UNUSED_PAD src0_sel:WORD_0 src1_sel:DWORD
	v_mul_u32_u24_sdwa v41, v53, s24 dst_sel:DWORD dst_unused:UNUSED_PAD src0_sel:WORD_1 src1_sel:DWORD
	v_mul_u32_u24_sdwa v43, v54, s24 dst_sel:DWORD dst_unused:UNUSED_PAD src0_sel:WORD_0 src1_sel:DWORD
	v_mul_u32_u24_sdwa v44, v54, s24 dst_sel:DWORD dst_unused:UNUSED_PAD src0_sel:WORD_1 src1_sel:DWORD
	v_pk_fma_f16 v42, v36, v40, v42
	v_pk_fma_f16 v27, v36, v41, v27
	;; [unrolled: 1-line block ×8, first 2 shown]
	ds_read2_b64 v[34:37], v17 offset0:128 offset1:160
	v_mul_u32_u24_sdwa v41, v55, s24 dst_sel:DWORD dst_unused:UNUSED_PAD src0_sel:WORD_0 src1_sel:DWORD
	v_mul_u32_u24_sdwa v43, v55, s24 dst_sel:DWORD dst_unused:UNUSED_PAD src0_sel:WORD_1 src1_sel:DWORD
	v_mul_u32_u24_sdwa v44, v56, s24 dst_sel:DWORD dst_unused:UNUSED_PAD src0_sel:WORD_0 src1_sel:DWORD
	v_mul_u32_u24_sdwa v52, v56, s24 dst_sel:DWORD dst_unused:UNUSED_PAD src0_sel:WORD_1 src1_sel:DWORD
	s_waitcnt lgkmcnt(0)
	v_pk_fma_f16 v42, v34, v41, v42
	v_pk_fma_f16 v27, v34, v43, v27
	;; [unrolled: 1-line block ×8, first 2 shown]
	v_mul_u32_u24_sdwa v40, v57, s24 dst_sel:DWORD dst_unused:UNUSED_PAD src0_sel:WORD_0 src1_sel:DWORD
	v_mul_u32_u24_sdwa v41, v57, s24 dst_sel:DWORD dst_unused:UNUSED_PAD src0_sel:WORD_1 src1_sel:DWORD
	v_mul_u32_u24_sdwa v43, v58, s24 dst_sel:DWORD dst_unused:UNUSED_PAD src0_sel:WORD_0 src1_sel:DWORD
	v_mul_u32_u24_sdwa v44, v58, s24 dst_sel:DWORD dst_unused:UNUSED_PAD src0_sel:WORD_1 src1_sel:DWORD
	v_pk_fma_f16 v42, v36, v40, v42
	v_pk_fma_f16 v27, v36, v41, v27
	;; [unrolled: 1-line block ×8, first 2 shown]
	ds_read2_b64 v[34:37], v17 offset0:192 offset1:224
	v_mul_u32_u24_sdwa v17, v59, s24 dst_sel:DWORD dst_unused:UNUSED_PAD src0_sel:WORD_0 src1_sel:DWORD
	v_mul_u32_u24_sdwa v41, v59, s24 dst_sel:DWORD dst_unused:UNUSED_PAD src0_sel:WORD_1 src1_sel:DWORD
	v_mul_u32_u24_sdwa v43, v60, s24 dst_sel:DWORD dst_unused:UNUSED_PAD src0_sel:WORD_0 src1_sel:DWORD
	v_mul_u32_u24_sdwa v44, v60, s24 dst_sel:DWORD dst_unused:UNUSED_PAD src0_sel:WORD_1 src1_sel:DWORD
	s_waitcnt lgkmcnt(0)
	v_pk_fma_f16 v42, v34, v17, v42
	v_pk_fma_f16 v27, v34, v41, v27
	;; [unrolled: 1-line block ×6, first 2 shown]
	v_mul_u32_u24_sdwa v39, v61, s24 dst_sel:DWORD dst_unused:UNUSED_PAD src0_sel:WORD_0 src1_sel:DWORD
	v_mul_u32_u24_sdwa v40, v61, s24 dst_sel:DWORD dst_unused:UNUSED_PAD src0_sel:WORD_1 src1_sel:DWORD
	v_pk_fma_f16 v42, v36, v39, v42
	v_pk_fma_f16 v27, v36, v40, v27
	;; [unrolled: 1-line block ×4, first 2 shown]
	ds_read_b128 v[38:41], v23 offset:192
	v_pk_fma_f16 v18, v34, v43, v18
	v_pk_fma_f16 v34, v34, v44, v51
	v_mul_u32_u24_sdwa v43, v62, s24 dst_sel:DWORD dst_unused:UNUSED_PAD src0_sel:WORD_0 src1_sel:DWORD
	v_mul_u32_u24_sdwa v44, v62, s24 dst_sel:DWORD dst_unused:UNUSED_PAD src0_sel:WORD_1 src1_sel:DWORD
	v_pk_fma_f16 v18, v36, v43, v18
	v_pk_fma_f16 v55, v36, v44, v34
	;; [unrolled: 1-line block ×4, first 2 shown]
	ds_read2_b64 v[34:37], v16 offset1:32
	ds_read_b128 v[51:54], v23 offset:208
	s_waitcnt lgkmcnt(2)
	v_mul_u32_u24_sdwa v44, v38, s24 dst_sel:DWORD dst_unused:UNUSED_PAD src0_sel:WORD_0 src1_sel:DWORD
	v_mul_u32_u24_sdwa v38, v38, s24 dst_sel:DWORD dst_unused:UNUSED_PAD src0_sel:WORD_1 src1_sel:DWORD
	v_mul_u32_u24_sdwa v57, v39, s24 dst_sel:DWORD dst_unused:UNUSED_PAD src0_sel:WORD_0 src1_sel:DWORD
	v_mul_u32_u24_sdwa v39, v39, s24 dst_sel:DWORD dst_unused:UNUSED_PAD src0_sel:WORD_1 src1_sel:DWORD
	s_waitcnt lgkmcnt(1)
	v_pk_fma_f16 v42, v34, v44, v42
	v_pk_fma_f16 v27, v34, v38, v27
	v_pk_fma_f16 v18, v34, v57, v18
	v_pk_fma_f16 v34, v34, v39, v55
	v_pk_fma_f16 v17, v35, v44, v17
	v_pk_fma_f16 v38, v35, v38, v56
	v_pk_fma_f16 v24, v35, v57, v24
	v_pk_fma_f16 v35, v35, v39, v43
	v_mul_u32_u24_sdwa v39, v40, s24 dst_sel:DWORD dst_unused:UNUSED_PAD src0_sel:WORD_0 src1_sel:DWORD
	v_mul_u32_u24_sdwa v40, v40, s24 dst_sel:DWORD dst_unused:UNUSED_PAD src0_sel:WORD_1 src1_sel:DWORD
	v_mul_u32_u24_sdwa v43, v41, s24 dst_sel:DWORD dst_unused:UNUSED_PAD src0_sel:WORD_0 src1_sel:DWORD
	v_mul_u32_u24_sdwa v41, v41, s24 dst_sel:DWORD dst_unused:UNUSED_PAD src0_sel:WORD_1 src1_sel:DWORD
	v_pk_fma_f16 v42, v36, v39, v42
	v_pk_fma_f16 v27, v36, v40, v27
	;; [unrolled: 1-line block ×8, first 2 shown]
	ds_read2_b64 v[34:37], v16 offset0:64 offset1:96
	s_waitcnt lgkmcnt(1)
	v_mul_u32_u24_sdwa v40, v51, s24 dst_sel:DWORD dst_unused:UNUSED_PAD src0_sel:WORD_0 src1_sel:DWORD
	v_mul_u32_u24_sdwa v41, v51, s24 dst_sel:DWORD dst_unused:UNUSED_PAD src0_sel:WORD_1 src1_sel:DWORD
	v_mul_u32_u24_sdwa v43, v52, s24 dst_sel:DWORD dst_unused:UNUSED_PAD src0_sel:WORD_0 src1_sel:DWORD
	v_mul_u32_u24_sdwa v51, v52, s24 dst_sel:DWORD dst_unused:UNUSED_PAD src0_sel:WORD_1 src1_sel:DWORD
	s_waitcnt lgkmcnt(0)
	v_pk_fma_f16 v42, v34, v40, v42
	v_pk_fma_f16 v27, v34, v41, v27
	;; [unrolled: 1-line block ×6, first 2 shown]
	v_mul_u32_u24_sdwa v39, v53, s24 dst_sel:DWORD dst_unused:UNUSED_PAD src0_sel:WORD_0 src1_sel:DWORD
	v_mul_u32_u24_sdwa v40, v53, s24 dst_sel:DWORD dst_unused:UNUSED_PAD src0_sel:WORD_1 src1_sel:DWORD
	v_pk_fma_f16 v42, v36, v39, v42
	v_pk_fma_f16 v27, v36, v40, v27
	;; [unrolled: 1-line block ×4, first 2 shown]
	ds_read_b128 v[38:41], v23 offset:224
	v_pk_fma_f16 v18, v34, v43, v18
	v_pk_fma_f16 v34, v34, v51, v44
	v_mul_u32_u24_sdwa v43, v54, s24 dst_sel:DWORD dst_unused:UNUSED_PAD src0_sel:WORD_0 src1_sel:DWORD
	v_mul_u32_u24_sdwa v44, v54, s24 dst_sel:DWORD dst_unused:UNUSED_PAD src0_sel:WORD_1 src1_sel:DWORD
	v_pk_fma_f16 v18, v36, v43, v18
	v_pk_fma_f16 v55, v36, v44, v34
	;; [unrolled: 1-line block ×4, first 2 shown]
	ds_read2_b64 v[34:37], v16 offset0:128 offset1:160
	ds_read_b128 v[51:54], v23 offset:240
	s_waitcnt lgkmcnt(2)
	v_mul_u32_u24_sdwa v44, v38, s24 dst_sel:DWORD dst_unused:UNUSED_PAD src0_sel:WORD_0 src1_sel:DWORD
	v_mul_u32_u24_sdwa v38, v38, s24 dst_sel:DWORD dst_unused:UNUSED_PAD src0_sel:WORD_1 src1_sel:DWORD
	v_mul_u32_u24_sdwa v57, v39, s24 dst_sel:DWORD dst_unused:UNUSED_PAD src0_sel:WORD_0 src1_sel:DWORD
	v_mul_u32_u24_sdwa v39, v39, s24 dst_sel:DWORD dst_unused:UNUSED_PAD src0_sel:WORD_1 src1_sel:DWORD
	s_waitcnt lgkmcnt(1)
	v_pk_fma_f16 v42, v34, v44, v42
	v_pk_fma_f16 v27, v34, v38, v27
	v_pk_fma_f16 v18, v34, v57, v18
	v_pk_fma_f16 v34, v34, v39, v55
	v_pk_fma_f16 v17, v35, v44, v17
	v_pk_fma_f16 v38, v35, v38, v56
	v_pk_fma_f16 v24, v35, v57, v24
	v_pk_fma_f16 v35, v35, v39, v43
	v_mul_u32_u24_sdwa v39, v40, s24 dst_sel:DWORD dst_unused:UNUSED_PAD src0_sel:WORD_0 src1_sel:DWORD
	v_mul_u32_u24_sdwa v40, v40, s24 dst_sel:DWORD dst_unused:UNUSED_PAD src0_sel:WORD_1 src1_sel:DWORD
	v_mul_u32_u24_sdwa v43, v41, s24 dst_sel:DWORD dst_unused:UNUSED_PAD src0_sel:WORD_0 src1_sel:DWORD
	v_mul_u32_u24_sdwa v41, v41, s24 dst_sel:DWORD dst_unused:UNUSED_PAD src0_sel:WORD_1 src1_sel:DWORD
	v_pk_fma_f16 v42, v36, v39, v42
	v_pk_fma_f16 v27, v36, v40, v27
	;; [unrolled: 1-line block ×8, first 2 shown]
	ds_read2_b64 v[34:37], v16 offset0:192 offset1:224
	s_waitcnt lgkmcnt(0)
	s_barrier
	s_load_dword s8, s[0:1], 0x4
	v_mul_u32_u24_sdwa v16, v51, s24 dst_sel:DWORD dst_unused:UNUSED_PAD src0_sel:WORD_0 src1_sel:DWORD
	v_mul_u32_u24_sdwa v40, v51, s24 dst_sel:DWORD dst_unused:UNUSED_PAD src0_sel:WORD_1 src1_sel:DWORD
	v_mul_u32_u24_sdwa v41, v52, s24 dst_sel:DWORD dst_unused:UNUSED_PAD src0_sel:WORD_0 src1_sel:DWORD
	v_mul_u32_u24_sdwa v43, v52, s24 dst_sel:DWORD dst_unused:UNUSED_PAD src0_sel:WORD_1 src1_sel:DWORD
	s_waitcnt lgkmcnt(0)
	s_lshl_b32 s8, s8, 5
	v_pk_fma_f16 v42, v34, v16, v42
	v_pk_fma_f16 v27, v34, v40, v27
	v_pk_fma_f16 v18, v34, v41, v18
	v_pk_fma_f16 v44, v34, v43, v44
	v_pk_fma_f16 v16, v35, v16, v17
	v_pk_fma_f16 v38, v35, v40, v38
	v_pk_fma_f16 v24, v35, v41, v24
	v_pk_fma_f16 v39, v35, v43, v39
	v_mul_u32_u24_sdwa v35, v53, s24 dst_sel:DWORD dst_unused:UNUSED_PAD src0_sel:WORD_0 src1_sel:DWORD
	v_mul_u32_u24_sdwa v40, v53, s24 dst_sel:DWORD dst_unused:UNUSED_PAD src0_sel:WORD_1 src1_sel:DWORD
	v_mul_u32_u24_sdwa v41, v54, s24 dst_sel:DWORD dst_unused:UNUSED_PAD src0_sel:WORD_0 src1_sel:DWORD
	v_mul_u32_u24_sdwa v43, v54, s24 dst_sel:DWORD dst_unused:UNUSED_PAD src0_sel:WORD_1 src1_sel:DWORD
	s_add_i32 s6, s8, s6
	v_pk_fma_f16 v34, v36, v35, v42
	v_pk_fma_f16 v27, v36, v40, v27
	v_pk_fma_f16 v18, v36, v41, v18
	v_pk_fma_f16 v17, v36, v43, v44
	v_pk_fma_f16 v36, v37, v35, v16
	v_pk_fma_f16 v35, v37, v40, v38
	v_pk_fma_f16 v24, v37, v41, v24
	s_cmp_ge_i32 s6, s28
	v_pk_fma_f16 v16, v37, v43, v39
	s_cbranch_scc1 .LBB21_15
; %bb.37:                               ;   in Loop: Header=BB21_20 Depth=1
	v_mov_b32_e32 v44, v1
	v_mov_b32_e32 v43, v2
	;; [unrolled: 1-line block ×8, first 2 shown]
	s_branch .LBB21_20
.LBB21_38:
	v_mov_b32_e32 v12, v8
	v_mov_b32_e32 v11, v7
	v_mov_b32_e32 v10, v6
	v_mov_b32_e32 v9, v5
	v_cmp_gt_i32_e32 vcc, s2, v13
	s_and_saveexec_b64 s[0:1], vcc
	s_cbranch_execz .LBB21_17
.LBB21_39:
	s_load_dword s6, s[4:5], 0xd4
	v_mov_b32_e32 v19, 1.0
	s_waitcnt lgkmcnt(0)
	s_cmp_lg_u32 s6, 1
	s_cselect_b64 s[0:1], -1, 0
	s_cmp_eq_u32 s6, 1
	s_cselect_b64 s[4:5], -1, 0
	s_and_b64 vcc, exec, s[0:1]
	s_cbranch_vccnz .LBB21_41
; %bb.40:
	v_div_scale_f32 v19, s[8:9], v5, v5, 1.0
	v_div_scale_f32 v20, vcc, 1.0, v5, 1.0
	v_rcp_f32_e32 v21, v19
	v_fma_f32 v22, -v19, v21, 1.0
	v_fmac_f32_e32 v21, v22, v21
	v_mul_f32_e32 v22, v20, v21
	v_fma_f32 v23, -v19, v22, v20
	v_fmac_f32_e32 v22, v23, v21
	v_fma_f32 v19, -v19, v22, v20
	v_div_fmas_f32 v19, v19, v21, v22
	v_div_fixup_f32 v19, v19, v5, 1.0
.LBB21_41:
	s_mul_i32 s33, s33, s2
	v_add_u32_e32 v5, s33, v13
	v_mul_lo_u32 v5, v5, s3
	v_cmp_eq_u32_e32 vcc, 0, v0
	v_cvt_f32_f16_e32 v0, v34
	v_mov_b32_e32 v26, 0
	v_add3_u32 v5, s29, v14, v5
	v_mul_lo_u32 v5, s6, v5
	v_cvt_f32_f16_sdwa v14, v34 dst_sel:DWORD dst_unused:UNUSED_PAD src0_sel:WORD_1
	v_cvt_f32_f16_e32 v22, v36
	s_and_b64 s[2:3], vcc, s[0:1]
	v_add_u32_e32 v13, s7, v5
	v_lshl_add_u32 v25, v13, 7, v15
	v_cvt_f32_f16_sdwa v5, v36 dst_sel:DWORD dst_unused:UNUSED_PAD src0_sel:WORD_1
	v_lshlrev_b64 v[25:26], 2, v[25:26]
	v_mul_f32_e32 v20, v19, v0
	v_mov_b32_e32 v0, s21
	v_add_co_u32_e32 v25, vcc, s20, v25
	v_mul_f32_e32 v21, v19, v14
	v_mul_f32_e32 v22, v19, v22
	;; [unrolled: 1-line block ×3, first 2 shown]
	v_addc_co_u32_e32 v26, vcc, v0, v26, vcc
	global_store_dwordx4 v[25:26], v[20:23], off
	s_and_saveexec_b64 s[0:1], s[2:3]
	s_cbranch_execz .LBB21_43
; %bb.42:
	v_ashrrev_i32_e32 v14, 31, v13
	v_lshlrev_b64 v[19:20], 3, v[13:14]
	v_mov_b32_e32 v0, s23
	v_add_co_u32_e32 v19, vcc, s22, v19
	v_addc_co_u32_e32 v20, vcc, v0, v20, vcc
	v_mov_b32_e32 v0, v1
	v_mov_b32_e32 v1, v9
	global_store_dwordx2 v[19:20], v[0:1], off
.LBB21_43:
	s_or_b64 exec, exec, s[0:1]
	v_cndmask_b32_e64 v0, 0, 1, s[4:5]
	v_cmp_ne_u32_e64 s[0:1], 1, v0
	s_andn2_b64 vcc, exec, s[4:5]
	v_mov_b32_e32 v1, 1.0
	s_cbranch_vccnz .LBB21_45
; %bb.44:
	v_div_scale_f32 v0, s[4:5], v6, v6, 1.0
	v_div_scale_f32 v1, vcc, 1.0, v6, 1.0
	v_rcp_f32_e32 v5, v0
	v_fma_f32 v9, -v0, v5, 1.0
	v_fmac_f32_e32 v5, v9, v5
	v_mul_f32_e32 v9, v1, v5
	v_fma_f32 v14, -v0, v9, v1
	v_fmac_f32_e32 v9, v14, v5
	v_fma_f32 v0, -v0, v9, v1
	v_div_fmas_f32 v0, v0, v5, v9
	v_div_fixup_f32 v1, v0, v6, 1.0
.LBB21_45:
	v_add_u32_e32 v0, s6, v13
	v_cvt_f32_f16_e32 v9, v27
	v_cvt_f32_f16_sdwa v13, v27 dst_sel:DWORD dst_unused:UNUSED_PAD src0_sel:WORD_1
	v_cvt_f32_f16_e32 v14, v35
	v_cvt_f32_f16_sdwa v22, v35 dst_sel:DWORD dst_unused:UNUSED_PAD src0_sel:WORD_1
	v_lshl_add_u32 v5, v0, 7, v15
	v_mov_b32_e32 v6, 0
	v_lshlrev_b64 v[5:6], 2, v[5:6]
	v_mul_f32_e32 v19, v1, v9
	v_mul_f32_e32 v20, v1, v13
	;; [unrolled: 1-line block ×4, first 2 shown]
	v_mov_b32_e32 v1, s21
	v_add_co_u32_e32 v5, vcc, s20, v5
	v_addc_co_u32_e32 v6, vcc, v1, v6, vcc
	global_store_dwordx4 v[5:6], v[19:22], off
	s_and_saveexec_b64 s[4:5], s[2:3]
	s_cbranch_execz .LBB21_47
; %bb.46:
	v_ashrrev_i32_e32 v1, 31, v0
	v_lshlrev_b64 v[5:6], 3, v[0:1]
	v_mov_b32_e32 v1, s23
	v_add_co_u32_e32 v5, vcc, s22, v5
	v_addc_co_u32_e32 v6, vcc, v1, v6, vcc
	v_mov_b32_e32 v9, v2
	global_store_dwordx2 v[5:6], v[9:10], off
.LBB21_47:
	s_or_b64 exec, exec, s[4:5]
	s_and_b64 vcc, exec, s[0:1]
	v_mov_b32_e32 v1, 1.0
	s_cbranch_vccnz .LBB21_49
; %bb.48:
	v_div_scale_f32 v1, s[4:5], v7, v7, 1.0
	v_div_scale_f32 v2, vcc, 1.0, v7, 1.0
	v_rcp_f32_e32 v5, v1
	v_fma_f32 v6, -v1, v5, 1.0
	v_fmac_f32_e32 v5, v6, v5
	v_mul_f32_e32 v6, v2, v5
	v_fma_f32 v9, -v1, v6, v2
	v_fmac_f32_e32 v6, v9, v5
	v_fma_f32 v1, -v1, v6, v2
	v_div_fmas_f32 v1, v1, v5, v6
	v_div_fixup_f32 v1, v1, v7, 1.0
.LBB21_49:
	v_cvt_f32_f16_e32 v2, v18
	v_cvt_f32_f16_sdwa v7, v18 dst_sel:DWORD dst_unused:UNUSED_PAD src0_sel:WORD_1
	v_cvt_f32_f16_e32 v9, v24
	v_cvt_f32_f16_sdwa v10, v24 dst_sel:DWORD dst_unused:UNUSED_PAD src0_sel:WORD_1
	v_add_u32_e32 v0, s6, v0
	v_lshl_add_u32 v5, v0, 7, v15
	v_mov_b32_e32 v6, 0
	v_mul_f32_e32 v18, v1, v2
	v_mul_f32_e32 v19, v1, v7
	;; [unrolled: 1-line block ×4, first 2 shown]
	v_lshlrev_b64 v[1:2], 2, v[5:6]
	v_mov_b32_e32 v5, s21
	v_add_co_u32_e32 v1, vcc, s20, v1
	v_addc_co_u32_e32 v2, vcc, v5, v2, vcc
	global_store_dwordx4 v[1:2], v[18:21], off
	s_and_saveexec_b64 s[4:5], s[2:3]
	s_cbranch_execz .LBB21_51
; %bb.50:
	v_ashrrev_i32_e32 v1, 31, v0
	v_lshlrev_b64 v[1:2], 3, v[0:1]
	v_mov_b32_e32 v5, s23
	v_add_co_u32_e32 v1, vcc, s22, v1
	v_addc_co_u32_e32 v2, vcc, v5, v2, vcc
	v_mov_b32_e32 v10, v3
	global_store_dwordx2 v[1:2], v[10:11], off
.LBB21_51:
	s_or_b64 exec, exec, s[4:5]
	s_and_b64 vcc, exec, s[0:1]
	v_mov_b32_e32 v1, 1.0
	s_cbranch_vccnz .LBB21_53
; %bb.52:
	v_div_scale_f32 v1, s[0:1], v8, v8, 1.0
	v_div_scale_f32 v2, vcc, 1.0, v8, 1.0
	v_rcp_f32_e32 v3, v1
	v_fma_f32 v5, -v1, v3, 1.0
	v_fmac_f32_e32 v3, v5, v3
	v_mul_f32_e32 v5, v2, v3
	v_fma_f32 v6, -v1, v5, v2
	v_fmac_f32_e32 v5, v6, v3
	v_fma_f32 v1, -v1, v5, v2
	v_div_fmas_f32 v1, v1, v3, v5
	v_div_fixup_f32 v1, v1, v8, 1.0
.LBB21_53:
	v_cvt_f32_f16_e32 v5, v17
	v_cvt_f32_f16_sdwa v6, v17 dst_sel:DWORD dst_unused:UNUSED_PAD src0_sel:WORD_1
	v_cvt_f32_f16_e32 v7, v16
	v_cvt_f32_f16_sdwa v8, v16 dst_sel:DWORD dst_unused:UNUSED_PAD src0_sel:WORD_1
	v_add_u32_e32 v0, s6, v0
	v_lshl_add_u32 v2, v0, 7, v15
	v_mov_b32_e32 v3, 0
	v_mul_f32_e32 v5, v1, v5
	v_mul_f32_e32 v6, v1, v6
	;; [unrolled: 1-line block ×4, first 2 shown]
	v_lshlrev_b64 v[1:2], 2, v[2:3]
	v_mov_b32_e32 v3, s21
	v_add_co_u32_e32 v1, vcc, s20, v1
	v_addc_co_u32_e32 v2, vcc, v3, v2, vcc
	global_store_dwordx4 v[1:2], v[5:8], off
	s_and_b64 exec, exec, s[2:3]
	s_cbranch_execz .LBB21_17
; %bb.54:
	v_ashrrev_i32_e32 v1, 31, v0
	v_lshlrev_b64 v[0:1], 3, v[0:1]
	v_mov_b32_e32 v2, s23
	v_add_co_u32_e32 v0, vcc, s22, v0
	v_addc_co_u32_e32 v1, vcc, v2, v1, vcc
	v_mov_b32_e32 v11, v4
	global_store_dwordx2 v[0:1], v[11:12], off
	s_endpgm
	.section	.rodata,"a",@progbits
	.p2align	6, 0x0
	.amdhsa_kernel _ZL15flash_attn_tileILi192ELi128ELi4ELi8ELb1EEvPKcS1_S1_S1_S1_PKiPfP15HIP_vector_typeIfLj2EEffffjfiS5_IjLj3EEiiiiiiiiiiiliiliiiiil
		.amdhsa_group_segment_fixed_size 18944
		.amdhsa_private_segment_fixed_size 0
		.amdhsa_kernarg_size 464
		.amdhsa_user_sgpr_count 6
		.amdhsa_user_sgpr_private_segment_buffer 1
		.amdhsa_user_sgpr_dispatch_ptr 0
		.amdhsa_user_sgpr_queue_ptr 0
		.amdhsa_user_sgpr_kernarg_segment_ptr 1
		.amdhsa_user_sgpr_dispatch_id 0
		.amdhsa_user_sgpr_flat_scratch_init 0
		.amdhsa_user_sgpr_private_segment_size 0
		.amdhsa_uses_dynamic_stack 0
		.amdhsa_system_sgpr_private_segment_wavefront_offset 0
		.amdhsa_system_sgpr_workgroup_id_x 1
		.amdhsa_system_sgpr_workgroup_id_y 1
		.amdhsa_system_sgpr_workgroup_id_z 1
		.amdhsa_system_sgpr_workgroup_info 0
		.amdhsa_system_vgpr_workitem_id 1
		.amdhsa_next_free_vgpr 81
		.amdhsa_next_free_sgpr 98
		.amdhsa_reserve_vcc 1
		.amdhsa_reserve_flat_scratch 0
		.amdhsa_float_round_mode_32 0
		.amdhsa_float_round_mode_16_64 0
		.amdhsa_float_denorm_mode_32 3
		.amdhsa_float_denorm_mode_16_64 3
		.amdhsa_dx10_clamp 1
		.amdhsa_ieee_mode 1
		.amdhsa_fp16_overflow 0
		.amdhsa_exception_fp_ieee_invalid_op 0
		.amdhsa_exception_fp_denorm_src 0
		.amdhsa_exception_fp_ieee_div_zero 0
		.amdhsa_exception_fp_ieee_overflow 0
		.amdhsa_exception_fp_ieee_underflow 0
		.amdhsa_exception_fp_ieee_inexact 0
		.amdhsa_exception_int_div_zero 0
	.end_amdhsa_kernel
	.section	.text._ZL15flash_attn_tileILi192ELi128ELi4ELi8ELb1EEvPKcS1_S1_S1_S1_PKiPfP15HIP_vector_typeIfLj2EEffffjfiS5_IjLj3EEiiiiiiiiiiiliiliiiiil,"axG",@progbits,_ZL15flash_attn_tileILi192ELi128ELi4ELi8ELb1EEvPKcS1_S1_S1_S1_PKiPfP15HIP_vector_typeIfLj2EEffffjfiS5_IjLj3EEiiiiiiiiiiiliiliiiiil,comdat
.Lfunc_end21:
	.size	_ZL15flash_attn_tileILi192ELi128ELi4ELi8ELb1EEvPKcS1_S1_S1_S1_PKiPfP15HIP_vector_typeIfLj2EEffffjfiS5_IjLj3EEiiiiiiiiiiiliiliiiiil, .Lfunc_end21-_ZL15flash_attn_tileILi192ELi128ELi4ELi8ELb1EEvPKcS1_S1_S1_S1_PKiPfP15HIP_vector_typeIfLj2EEffffjfiS5_IjLj3EEiiiiiiiiiiiliiliiiiil
                                        ; -- End function
	.set _ZL15flash_attn_tileILi192ELi128ELi4ELi8ELb1EEvPKcS1_S1_S1_S1_PKiPfP15HIP_vector_typeIfLj2EEffffjfiS5_IjLj3EEiiiiiiiiiiiliiliiiiil.num_vgpr, 81
	.set _ZL15flash_attn_tileILi192ELi128ELi4ELi8ELb1EEvPKcS1_S1_S1_S1_PKiPfP15HIP_vector_typeIfLj2EEffffjfiS5_IjLj3EEiiiiiiiiiiiliiliiiiil.num_agpr, 0
	.set _ZL15flash_attn_tileILi192ELi128ELi4ELi8ELb1EEvPKcS1_S1_S1_S1_PKiPfP15HIP_vector_typeIfLj2EEffffjfiS5_IjLj3EEiiiiiiiiiiiliiliiiiil.numbered_sgpr, 44
	.set _ZL15flash_attn_tileILi192ELi128ELi4ELi8ELb1EEvPKcS1_S1_S1_S1_PKiPfP15HIP_vector_typeIfLj2EEffffjfiS5_IjLj3EEiiiiiiiiiiiliiliiiiil.num_named_barrier, 0
	.set _ZL15flash_attn_tileILi192ELi128ELi4ELi8ELb1EEvPKcS1_S1_S1_S1_PKiPfP15HIP_vector_typeIfLj2EEffffjfiS5_IjLj3EEiiiiiiiiiiiliiliiiiil.private_seg_size, 0
	.set _ZL15flash_attn_tileILi192ELi128ELi4ELi8ELb1EEvPKcS1_S1_S1_S1_PKiPfP15HIP_vector_typeIfLj2EEffffjfiS5_IjLj3EEiiiiiiiiiiiliiliiiiil.uses_vcc, 1
	.set _ZL15flash_attn_tileILi192ELi128ELi4ELi8ELb1EEvPKcS1_S1_S1_S1_PKiPfP15HIP_vector_typeIfLj2EEffffjfiS5_IjLj3EEiiiiiiiiiiiliiliiiiil.uses_flat_scratch, 0
	.set _ZL15flash_attn_tileILi192ELi128ELi4ELi8ELb1EEvPKcS1_S1_S1_S1_PKiPfP15HIP_vector_typeIfLj2EEffffjfiS5_IjLj3EEiiiiiiiiiiiliiliiiiil.has_dyn_sized_stack, 0
	.set _ZL15flash_attn_tileILi192ELi128ELi4ELi8ELb1EEvPKcS1_S1_S1_S1_PKiPfP15HIP_vector_typeIfLj2EEffffjfiS5_IjLj3EEiiiiiiiiiiiliiliiiiil.has_recursion, 0
	.set _ZL15flash_attn_tileILi192ELi128ELi4ELi8ELb1EEvPKcS1_S1_S1_S1_PKiPfP15HIP_vector_typeIfLj2EEffffjfiS5_IjLj3EEiiiiiiiiiiiliiliiiiil.has_indirect_call, 0
	.section	.AMDGPU.csdata,"",@progbits
; Kernel info:
; codeLenInByte = 15060
; TotalNumSgprs: 48
; NumVgprs: 81
; ScratchSize: 0
; MemoryBound: 0
; FloatMode: 240
; IeeeMode: 1
; LDSByteSize: 18944 bytes/workgroup (compile time only)
; SGPRBlocks: 12
; VGPRBlocks: 20
; NumSGPRsForWavesPerEU: 102
; NumVGPRsForWavesPerEU: 81
; Occupancy: 3
; WaveLimiterHint : 1
; COMPUTE_PGM_RSRC2:SCRATCH_EN: 0
; COMPUTE_PGM_RSRC2:USER_SGPR: 6
; COMPUTE_PGM_RSRC2:TRAP_HANDLER: 0
; COMPUTE_PGM_RSRC2:TGID_X_EN: 1
; COMPUTE_PGM_RSRC2:TGID_Y_EN: 1
; COMPUTE_PGM_RSRC2:TGID_Z_EN: 1
; COMPUTE_PGM_RSRC2:TIDIG_COMP_CNT: 1
	.section	.text._ZL15flash_attn_tileILi192ELi128ELi2ELi8ELb1EEvPKcS1_S1_S1_S1_PKiPfP15HIP_vector_typeIfLj2EEffffjfiS5_IjLj3EEiiiiiiiiiiiliiliiiiil,"axG",@progbits,_ZL15flash_attn_tileILi192ELi128ELi2ELi8ELb1EEvPKcS1_S1_S1_S1_PKiPfP15HIP_vector_typeIfLj2EEffffjfiS5_IjLj3EEiiiiiiiiiiiliiliiiiil,comdat
	.globl	_ZL15flash_attn_tileILi192ELi128ELi2ELi8ELb1EEvPKcS1_S1_S1_S1_PKiPfP15HIP_vector_typeIfLj2EEffffjfiS5_IjLj3EEiiiiiiiiiiiliiliiiiil ; -- Begin function _ZL15flash_attn_tileILi192ELi128ELi2ELi8ELb1EEvPKcS1_S1_S1_S1_PKiPfP15HIP_vector_typeIfLj2EEffffjfiS5_IjLj3EEiiiiiiiiiiiliiliiiiil
	.p2align	8
	.type	_ZL15flash_attn_tileILi192ELi128ELi2ELi8ELb1EEvPKcS1_S1_S1_S1_PKiPfP15HIP_vector_typeIfLj2EEffffjfiS5_IjLj3EEiiiiiiiiiiiliiliiiiil,@function
_ZL15flash_attn_tileILi192ELi128ELi2ELi8ELb1EEvPKcS1_S1_S1_S1_PKiPfP15HIP_vector_typeIfLj2EEffffjfiS5_IjLj3EEiiiiiiiiiiiliiliiiiil: ; @_ZL15flash_attn_tileILi192ELi128ELi2ELi8ELb1EEvPKcS1_S1_S1_S1_PKiPfP15HIP_vector_typeIfLj2EEffffjfiS5_IjLj3EEiiiiiiiiiiiliiliiiiil
; %bb.0:
	s_load_dwordx4 s[0:3], s[4:5], 0x5c
	s_load_dwordx2 s[28:29], s[4:5], 0x80
	s_load_dwordx2 s[34:35], s[4:5], 0xb8
	s_mov_b64 s[30:31], 0
	s_waitcnt lgkmcnt(0)
	s_ashr_i32 s9, s3, 31
	s_lshr_b32 s9, s9, 29
	s_add_i32 s9, s3, s9
	s_ashr_i32 s9, s9, 3
	v_cvt_f32_u32_e32 v2, s9
	s_sub_i32 s10, 0, s9
	v_rcp_iflag_f32_e32 v2, v2
	v_mul_f32_e32 v2, 0x4f7ffffe, v2
	v_cvt_u32_f32_e32 v2, v2
	v_readfirstlane_b32 s11, v2
	s_mul_i32 s10, s10, s11
	s_mul_hi_u32 s10, s11, s10
	s_add_i32 s11, s11, s10
	s_mul_hi_u32 s10, s8, s11
	s_mul_i32 s11, s10, s9
	s_sub_i32 s11, s8, s11
	s_add_i32 s12, s10, 1
	s_sub_i32 s13, s11, s9
	s_cmp_ge_u32 s11, s9
	s_cselect_b32 s10, s12, s10
	s_cselect_b32 s11, s13, s11
	s_add_i32 s12, s10, 1
	s_cmp_ge_u32 s11, s9
	s_cselect_b32 s33, s12, s10
	s_abs_i32 s9, s29
	v_cvt_f32_u32_e32 v2, s9
	s_lshl_b32 s8, s8, 3
	s_mul_i32 s12, s33, s3
	s_xor_b32 s10, s3, s29
	v_rcp_iflag_f32_e32 v2, v2
	s_sub_i32 s13, 0, s9
	s_sub_i32 s29, s8, s12
	s_abs_i32 s11, s3
	v_mul_f32_e32 v2, 0x4f7ffffe, v2
	v_cvt_u32_f32_e32 v2, v2
	s_ashr_i32 s10, s10, 31
	v_readfirstlane_b32 s8, v2
	s_mul_i32 s13, s13, s8
	s_mul_hi_u32 s12, s8, s13
	s_add_i32 s8, s8, s12
	s_mul_hi_u32 s8, s11, s8
	s_mul_i32 s12, s8, s9
	s_sub_i32 s11, s11, s12
	s_add_i32 s13, s8, 1
	s_sub_i32 s12, s11, s9
	s_cmp_ge_u32 s11, s9
	s_cselect_b32 s8, s13, s8
	s_cselect_b32 s11, s12, s11
	s_add_i32 s12, s8, 1
	s_cmp_ge_u32 s11, s9
	s_cselect_b32 s8, s12, s8
	s_xor_b32 s8, s8, s10
	s_sub_i32 s37, s8, s10
	s_abs_i32 s36, s37
	v_cvt_f32_u32_e32 v2, s36
	s_load_dwordx16 s[8:23], s[4:5], 0x0
	v_rcp_iflag_f32_e32 v2, v2
	s_waitcnt lgkmcnt(0)
	s_cmp_eq_u64 s[14:15], 0
	v_mul_f32_e32 v2, 0x4f7ffffe, v2
	v_cvt_u32_f32_e32 v2, v2
	v_readfirstlane_b32 s24, v2
	s_cbranch_scc1 .LBB22_2
; %bb.1:
	s_abs_i32 s25, s34
	v_cvt_f32_u32_e32 v2, s25
	s_sub_i32 s34, 0, s25
	s_abs_i32 s31, s33
	s_ashr_i32 s30, s33, 31
	v_rcp_iflag_f32_e32 v2, v2
	s_load_dwordx2 s[26:27], s[4:5], 0xc8
	v_mul_f32_e32 v2, 0x4f7ffffe, v2
	v_cvt_u32_f32_e32 v2, v2
	v_readfirstlane_b32 s38, v2
	s_mul_i32 s34, s34, s38
	s_mul_hi_u32 s34, s38, s34
	s_add_i32 s38, s38, s34
	s_mul_hi_u32 s34, s31, s38
	s_mul_i32 s34, s34, s25
	s_sub_i32 s31, s31, s34
	s_sub_i32 s34, s31, s25
	s_cmp_ge_u32 s31, s25
	s_cselect_b32 s31, s34, s31
	s_sub_i32 s34, s31, s25
	s_cmp_ge_u32 s31, s25
	s_cselect_b32 s25, s34, s31
	s_xor_b32 s25, s25, s30
	s_sub_i32 s25, s25, s30
	s_ashr_i32 s30, s25, 31
	s_waitcnt lgkmcnt(0)
	s_mul_hi_u32 s31, s26, s25
	s_mul_i32 s30, s26, s30
	s_mul_i32 s27, s27, s25
	s_add_i32 s30, s31, s30
	s_add_i32 s27, s30, s27
	s_mul_i32 s25, s26, s25
	s_add_u32 s30, s14, s25
	s_addc_u32 s31, s15, s27
.LBB22_2:
	v_lshrrev_b32_e32 v2, 2, v1
	s_load_dwordx4 s[40:43], s[4:5], 0x70
	v_lshl_add_u32 v7, s6, 1, v2
	v_mul_hi_u32 v2, s0, v7
	v_lshlrev_b32_e32 v15, 1, v1
	v_and_b32_e32 v8, 6, v15
	s_waitcnt lgkmcnt(0)
	s_mul_i32 s0, s33, s42
	v_add_u32_e32 v2, v7, v2
	s_ashr_i32 s15, s0, 31
	v_lshrrev_b32_e32 v2, s1, v2
	s_mul_i32 s14, s29, s41
	s_add_u32 s0, s8, s0
	v_mul_lo_u32 v2, v2, s2
	s_addc_u32 s8, s9, s15
	s_ashr_i32 s9, s14, 31
	s_add_u32 s25, s0, s14
	s_addc_u32 s14, s8, s9
	s_ashr_i32 s9, s41, 31
	s_mov_b32 s8, s41
	s_ashr_i32 s41, s40, 31
	v_sub_u32_e32 v4, v7, v2
	s_lshr_b64 s[0:1], s[40:41], 2
	v_mad_u64_u32 v[2:3], s[0:1], s0, v4, 0
	s_lshr_b32 s0, s41, 2
	v_mov_b32_e32 v9, s14
	v_mad_u64_u32 v[5:6], s[0:1], s0, v4, v[3:4]
	s_lshr_b64 s[0:1], s[8:9], 2
	s_lshr_b32 s8, s9, 2
	v_mov_b32_e32 v3, v5
	v_mad_u64_u32 v[5:6], s[14:15], s0, v8, 0
	v_lshlrev_b64 v[2:3], 2, v[2:3]
	s_load_dword s14, s[4:5], 0x40
	v_add_co_u32_e32 v10, vcc, s25, v2
	v_mov_b32_e32 v2, v6
	v_addc_co_u32_e32 v11, vcc, v9, v3, vcc
	v_mad_u64_u32 v[2:3], s[8:9], s8, v8, v[2:3]
	v_lshlrev_b32_e32 v9, 4, v0
	v_add_co_u32_e32 v9, vcc, v10, v9
	v_mov_b32_e32 v6, v2
	v_lshlrev_b64 v[2:3], 2, v[5:6]
	v_addc_co_u32_e32 v10, vcc, 0, v11, vcc
	v_add_co_u32_e32 v2, vcc, v9, v2
	v_addc_co_u32_e32 v3, vcc, v10, v3, vcc
	global_load_dwordx4 v[11:14], v[2:3], off
	v_lshlrev_b32_e32 v5, 3, v0
	s_movk_i32 s8, 0x300
	v_mul_u32_u24_e32 v6, 0x300, v1
	v_mad_u32_u24 v16, v1, s8, v5
	v_cmp_gt_u32_e32 vcc, 16, v0
	s_waitcnt vmcnt(0) lgkmcnt(0)
	v_fma_mixlo_f16 v11, s14, v11, 0
	v_fma_mixlo_f16 v12, s14, v12, 0
	;; [unrolled: 1-line block ×4, first 2 shown]
	v_lshlrev_b32_e32 v12, 16, v12
	v_and_b32_e32 v11, 0xffff, v11
	v_lshlrev_b32_e32 v14, 16, v14
	v_and_b32_e32 v13, 0xffff, v13
	v_or_b32_e32 v11, v12, v11
	v_or3_b32 v12, v14, v13, 0
	v_or3_b32 v11, 0, 0, v11
	ds_write_b64 v16, v[11:12]
	s_and_saveexec_b64 s[8:9], vcc
	s_cbranch_execz .LBB22_4
; %bb.3:
	global_load_dwordx4 v[11:14], v[2:3], off offset:512
	s_waitcnt vmcnt(0)
	v_fma_mixlo_f16 v2, s14, v11, 0
	v_fma_mixlo_f16 v3, s14, v12, 0
	;; [unrolled: 1-line block ×4, first 2 shown]
	v_lshlrev_b32_e32 v3, 16, v3
	v_and_b32_e32 v2, 0xffff, v2
	v_lshlrev_b32_e32 v12, 16, v12
	v_and_b32_e32 v11, 0xffff, v11
	v_or_b32_e32 v2, v3, v2
	v_or3_b32 v3, v12, v11, 0
	v_or3_b32 v2, 0, 0, v2
	v_add_u32_e32 v11, v5, v6
	ds_write_b64 v11, v[2:3] offset:256
.LBB22_4:
	s_or_b64 exec, exec, s[8:9]
	v_or_b32_e32 v11, 1, v15
	v_and_b32_e32 v12, 7, v11
	v_mad_u64_u32 v[2:3], s[8:9], s0, v12, 0
	v_mad_u64_u32 v[12:13], s[0:1], s1, v12, v[3:4]
	v_mov_b32_e32 v3, v12
	v_lshlrev_b64 v[2:3], 2, v[2:3]
	v_add_co_u32_e64 v2, s[0:1], v9, v2
	v_addc_co_u32_e64 v3, s[0:1], v10, v3, s[0:1]
	global_load_dwordx4 v[16:19], v[2:3], off
	s_movk_i32 s0, 0x180
	v_mad_u32_u24 v12, v11, s0, v5
	s_waitcnt vmcnt(0)
	v_fma_mixlo_f16 v9, s14, v16, 0
	v_fma_mixlo_f16 v10, s14, v17, 0
	;; [unrolled: 1-line block ×4, first 2 shown]
	v_lshlrev_b32_e32 v10, 16, v10
	v_and_b32_e32 v9, 0xffff, v9
	v_lshlrev_b32_e32 v14, 16, v14
	v_and_b32_e32 v13, 0xffff, v13
	v_or_b32_e32 v9, v10, v9
	v_or3_b32 v10, v14, v13, 0
	v_or3_b32 v9, 0, 0, v9
	ds_write_b64 v12, v[9:10]
	s_and_saveexec_b64 s[0:1], vcc
	s_cbranch_execz .LBB22_6
; %bb.5:
	global_load_dwordx4 v[16:19], v[2:3], off offset:512
	v_mul_u32_u24_e32 v9, 0x180, v11
	v_add_u32_e32 v9, v5, v9
	s_waitcnt vmcnt(0)
	v_fma_mixlo_f16 v2, s14, v16, 0
	v_fma_mixlo_f16 v3, s14, v17, 0
	;; [unrolled: 1-line block ×4, first 2 shown]
	v_lshlrev_b32_e32 v3, 16, v3
	v_and_b32_e32 v2, 0xffff, v2
	v_lshlrev_b32_e32 v11, 16, v11
	v_and_b32_e32 v10, 0xffff, v10
	v_or_b32_e32 v2, v3, v2
	v_or3_b32 v3, v11, v10, 0
	v_or3_b32 v2, 0, 0, v2
	ds_write_b64 v9, v[2:3] offset:256
.LBB22_6:
	s_or_b64 exec, exec, s[0:1]
	s_cmp_eq_u64 s[18:19], 0
	s_waitcnt lgkmcnt(0)
	s_barrier
	s_cbranch_scc1 .LBB22_8
; %bb.7:
	s_load_dword s0, s[4:5], 0xd0
	s_mov_b32 s1, 0
	s_waitcnt lgkmcnt(0)
	s_mul_i32 s0, s0, s33
	s_add_i32 s0, s0, s6
	s_lshl_b64 s[0:1], s[0:1], 2
	s_add_u32 s0, s18, s0
	s_addc_u32 s1, s19, s1
	s_load_dword s28, s[0:1], 0x0
.LBB22_8:
	s_lshl_b32 s6, s7, 5
	s_waitcnt lgkmcnt(0)
	s_cmp_lt_i32 s6, s28
	v_mbcnt_lo_u32_b32 v23, -1, 0
	s_cbranch_scc1 .LBB22_14
; %bb.9:
	v_mbcnt_hi_u32_b32 v10, -1, v23
	v_and_b32_e32 v2, 0x60, v10
	v_add_u32_e32 v27, 32, v2
	v_xor_b32_e32 v28, 16, v10
	v_xor_b32_e32 v29, 8, v10
	;; [unrolled: 1-line block ×5, first 2 shown]
	v_lshlrev_b32_e32 v9, 2, v0
	s_cbranch_execz .LBB22_15
; %bb.10:
	v_mov_b32_e32 v24, 0
	v_mov_b32_e32 v38, 0
	;; [unrolled: 1-line block ×8, first 2 shown]
.LBB22_11:
	v_cmp_lt_i32_e32 vcc, v28, v27
	v_cndmask_b32_e32 v1, v10, v28, vcc
	v_lshlrev_b32_e32 v1, 2, v1
	ds_bpermute_b32 v2, v1, v37
	ds_bpermute_b32 v1, v1, v38
	v_cmp_lt_i32_e32 vcc, v29, v27
	v_cndmask_b32_e32 v5, v10, v29, vcc
	v_lshlrev_b32_e32 v5, 2, v5
	s_waitcnt lgkmcnt(1)
	v_add_f32_e32 v2, v37, v2
	s_waitcnt lgkmcnt(0)
	v_add_f32_e32 v1, v38, v1
	ds_bpermute_b32 v6, v5, v2
	ds_bpermute_b32 v5, v5, v1
	v_cmp_lt_i32_e32 vcc, v30, v27
	v_cndmask_b32_e32 v11, v10, v30, vcc
	v_lshlrev_b32_e32 v11, 2, v11
	s_waitcnt lgkmcnt(1)
	v_add_f32_e32 v2, v2, v6
	s_waitcnt lgkmcnt(0)
	v_add_f32_e32 v1, v1, v5
	;; [unrolled: 9-line block ×4, first 2 shown]
	ds_bpermute_b32 v6, v10, v2
	ds_bpermute_b32 v10, v10, v5
	s_cmp_lg_u64 s[16:17], 0
	s_cselect_b64 s[0:1], -1, 0
	s_cmp_eq_u32 s7, 0
	s_cselect_b64 s[8:9], -1, 0
	s_and_b64 s[0:1], s[8:9], s[0:1]
	s_waitcnt lgkmcnt(1)
	v_add_f32_e32 v1, v2, v6
	s_waitcnt lgkmcnt(0)
	v_add_f32_e32 v2, v5, v10
	s_and_b64 vcc, exec, s[0:1]
	s_cbranch_vccz .LBB22_26
; %bb.12:
	v_add_u32_e32 v5, s29, v8
	v_ashrrev_i32_e32 v6, 31, v5
	v_lshlrev_b64 v[5:6], 2, v[5:6]
	v_mov_b32_e32 v10, s17
	v_add_co_u32_e32 v5, vcc, s16, v5
	v_addc_co_u32_e32 v6, vcc, v10, v6, vcc
	global_load_dwordx2 v[5:6], v[5:6], off
	v_max_f32_e32 v10, v3, v3
	v_max_f32_e32 v11, v4, v4
	s_mov_b32 s0, 0x3fb8aa3b
	s_mov_b32 s1, 0xc2ce8ed0
	;; [unrolled: 1-line block ×3, first 2 shown]
	v_mov_b32_e32 v12, 0x7f800000
	s_waitcnt vmcnt(0)
	v_max_f32_e32 v13, v5, v5
	v_max_f32_e32 v14, v6, v6
	v_max_f32_e32 v10, v10, v13
	v_max_f32_e32 v11, v11, v14
	v_sub_f32_e32 v13, v3, v10
	v_sub_f32_e32 v14, v4, v11
	v_mov_b32_e32 v3, v10
	v_sub_f32_e32 v5, v5, v10
	v_mov_b32_e32 v4, v11
	v_mul_f32_e32 v10, 0x3fb8aa3b, v13
	v_sub_f32_e32 v6, v6, v11
	v_mul_f32_e32 v11, 0x3fb8aa3b, v5
	v_fma_f32 v17, v13, s0, -v10
	v_rndne_f32_e32 v18, v10
	v_mul_f32_e32 v15, 0x3fb8aa3b, v14
	v_fma_f32 v19, v5, s0, -v11
	v_rndne_f32_e32 v20, v11
	v_fmac_f32_e32 v17, 0x32a5705f, v13
	v_sub_f32_e32 v10, v10, v18
	v_mul_f32_e32 v16, 0x3fb8aa3b, v6
	v_fma_f32 v21, v14, s0, -v15
	v_rndne_f32_e32 v22, v15
	v_fmac_f32_e32 v19, 0x32a5705f, v5
	v_sub_f32_e32 v11, v11, v20
	v_add_f32_e32 v10, v10, v17
	v_fma_f32 v27, v6, s0, -v16
	v_rndne_f32_e32 v28, v16
	v_cvt_i32_f32_e32 v18, v18
	v_fmac_f32_e32 v21, 0x32a5705f, v14
	v_sub_f32_e32 v15, v15, v22
	v_add_f32_e32 v11, v11, v19
	v_exp_f32_e32 v10, v10
	v_cvt_i32_f32_e32 v20, v20
	v_fmac_f32_e32 v27, 0x32a5705f, v6
	v_sub_f32_e32 v16, v16, v28
	v_add_f32_e32 v15, v15, v21
	v_exp_f32_e32 v11, v11
	v_cvt_i32_f32_e32 v22, v22
	v_add_f32_e32 v16, v16, v27
	v_exp_f32_e32 v15, v15
	v_cvt_i32_f32_e32 v28, v28
	v_exp_f32_e32 v16, v16
	v_ldexp_f32 v10, v10, v18
	v_cmp_ngt_f32_e32 vcc, s1, v13
	v_ldexp_f32 v11, v11, v20
	v_cndmask_b32_e32 v10, 0, v10, vcc
	v_cmp_ngt_f32_e32 vcc, s1, v5
	v_ldexp_f32 v15, v15, v22
	v_cndmask_b32_e32 v11, 0, v11, vcc
	;; [unrolled: 3-line block ×3, first 2 shown]
	v_cmp_ngt_f32_e32 vcc, s1, v6
	v_cndmask_b32_e32 v16, 0, v16, vcc
	v_cmp_nlt_f32_e32 vcc, s6, v13
	v_cndmask_b32_e32 v10, v12, v10, vcc
	v_cmp_nlt_f32_e32 vcc, s6, v5
	;; [unrolled: 2-line block ×4, first 2 shown]
	v_cndmask_b32_e32 v6, v12, v16, vcc
	v_fmac_f32_e32 v5, v1, v10
	v_cvt_f16_f32_e32 v10, v10
	v_cvt_f16_f32_e32 v12, v11
	v_fmac_f32_e32 v6, v2, v11
	v_mov_b32_e32 v1, v5
	v_mul_u32_u24_e32 v2, 0x10001, v10
	v_mul_u32_u24_e32 v10, 0x10001, v12
	v_pk_mul_f16 v24, v24, v2
	v_pk_mul_f16 v26, v26, v2
	;; [unrolled: 1-line block ×4, first 2 shown]
	v_mov_b32_e32 v2, v6
	v_cmp_gt_i32_e32 vcc, s2, v7
	s_and_saveexec_b64 s[0:1], vcc
	s_cbranch_execnz .LBB22_27
.LBB22_13:
	s_endpgm
.LBB22_14:
                                        ; implicit-def: $vgpr10
                                        ; implicit-def: $vgpr27
                                        ; implicit-def: $vgpr28
                                        ; implicit-def: $vgpr29
                                        ; implicit-def: $vgpr30
                                        ; implicit-def: $vgpr31
                                        ; implicit-def: $vgpr32
	v_lshlrev_b32_e32 v9, 2, v0
.LBB22_15:
	s_sub_i32 s0, 0, s36
	s_mul_i32 s0, s0, s24
	s_mul_hi_u32 s0, s24, s0
	s_abs_i32 s19, s29
	s_add_i32 s24, s24, s0
	s_mul_hi_u32 s34, s19, s24
	s_load_dwordx4 s[24:27], s[4:5], 0x98
	s_load_dword s14, s[4:5], 0x54
	s_load_dwordx2 s[0:1], s[4:5], 0x8c
	s_ashr_i32 s38, s29, 31
	s_ashr_i32 s37, s37, 31
	s_waitcnt lgkmcnt(0)
	s_ashr_i32 s15, s26, 2
	s_ashr_i32 s26, s35, 1
	;; [unrolled: 1-line block ×4, first 2 shown]
	s_mul_hi_u32 s35, s24, s33
	s_mul_i32 s39, s24, s0
	s_add_i32 s35, s35, s39
	s_mul_i32 s25, s25, s33
	s_add_i32 s35, s35, s25
	s_mul_i32 s24, s24, s33
	s_add_u32 s10, s10, s24
	s_mul_i32 s25, s34, s36
	s_addc_u32 s11, s11, s35
	s_sub_i32 s19, s19, s25
	s_xor_b32 s24, s38, s37
	s_add_i32 s25, s34, 1
	s_sub_i32 s35, s19, s36
	s_cmp_ge_u32 s19, s36
	s_cselect_b32 s25, s25, s34
	s_cselect_b32 s19, s35, s19
	s_add_i32 s34, s25, 1
	s_cmp_ge_u32 s19, s36
	s_cselect_b32 s19, s34, s25
	s_load_dwordx2 s[8:9], s[4:5], 0xa8
	s_xor_b32 s19, s19, s24
	v_lshrrev_b32_e32 v2, 3, v0
	s_sub_i32 s19, s19, s24
	v_lshl_add_u32 v2, v1, 2, v2
	s_mul_i32 s1, s19, s1
	v_mul_u32_u24_e32 v10, 0x90, v2
	v_mul_lo_u32 v2, s18, v2
	s_ashr_i32 s24, s1, 31
	s_add_u32 s1, s10, s1
	s_addc_u32 s10, s11, s24
	s_waitcnt lgkmcnt(0)
	s_mul_hi_u32 s11, s8, s33
	s_mul_i32 s0, s8, s0
	v_and_b32_e32 v3, 28, v9
	s_add_i32 s0, s11, s0
	s_mul_i32 s9, s9, s33
	v_lshlrev_b32_e32 v12, 2, v3
	v_ashrrev_i32_e32 v3, 31, v2
	s_add_i32 s0, s0, s9
	s_mul_i32 s8, s8, s33
	v_lshlrev_b64 v[2:3], 2, v[2:3]
	s_add_u32 s8, s12, s8
	s_mul_i32 s19, s19, s27
	s_movk_i32 s11, 0x1800
	s_addc_u32 s0, s13, s0
	s_ashr_i32 s9, s19, 31
	v_add3_u32 v11, v10, v12, s11
	v_mov_b32_e32 v10, s10
	v_add_co_u32_e32 v2, vcc, s1, v2
	s_add_u32 s8, s8, s19
	v_addc_co_u32_e32 v3, vcc, v10, v3, vcc
	s_addc_u32 s9, s0, s9
	s_movk_i32 s0, 0x90
	v_add_co_u32_e32 v12, vcc, v2, v12
	v_mov_b32_e32 v2, 0x1800
	v_addc_co_u32_e32 v13, vcc, 0, v3, vcc
	v_mad_u32_u24 v14, v0, s0, v2
	v_mad_u64_u32 v[2:3], s[0:1], v4, s26, v[0:1]
	v_mov_b32_e32 v3, 0x2a00
	v_lshl_add_u32 v1, v1, 7, v3
	v_lshrrev_b32_e32 v3, 4, v0
	v_add_u32_e32 v4, v3, v15
	v_mul_lo_u32 v3, s15, v4
	v_and_b32_e32 v10, 60, v9
	v_lshlrev_b32_e32 v10, 2, v10
	v_lshl_or_b32 v4, v4, 8, v10
	v_add_u32_e32 v15, 0x1800, v4
	v_ashrrev_i32_e32 v4, 31, v3
	v_lshlrev_b64 v[3:4], 2, v[3:4]
	v_mov_b32_e32 v16, s9
	v_add_co_u32_e32 v3, vcc, s8, v3
	v_addc_co_u32_e32 v4, vcc, v16, v4, vcc
	v_add_co_u32_e32 v16, vcc, v3, v10
	s_add_u32 s0, s4, 0xd0
	v_mov_b32_e32 v33, 0
	v_addc_co_u32_e32 v17, vcc, 0, v4, vcc
	s_addc_u32 s1, s5, 0
	v_mov_b32_e32 v36, 0xfeffffff
	v_mov_b32_e32 v25, 0
	;; [unrolled: 1-line block ×3, first 2 shown]
	s_mov_b32 s10, 0x3f200000
	s_mov_b32 s11, 0x3fb8aa3b
	;; [unrolled: 1-line block ×4, first 2 shown]
	v_mov_b32_e32 v19, 0xbd5c1c4e
	v_mov_b32_e32 v20, 0x3e088382
	;; [unrolled: 1-line block ×3, first 2 shown]
	s_brev_b32 s19, -2
	s_mov_b32 s24, 0x10001
	v_mov_b32_e32 v22, 0x7f800000
	v_mbcnt_hi_u32_b32 v10, -1, v23
	v_mov_b32_e32 v23, 0
	v_mov_b32_e32 v26, 0
	;; [unrolled: 1-line block ×5, first 2 shown]
.LBB22_16:                              ; =>This Inner Loop Header: Depth=1
	s_mul_hi_i32 s9, s6, s18
	s_mul_i32 s8, s6, s18
	s_lshl_b64 s[8:9], s[8:9], 2
	v_mov_b32_e32 v4, s9
	v_add_co_u32_e32 v3, vcc, s8, v12
	v_addc_co_u32_e32 v4, vcc, v13, v4, vcc
	global_load_dwordx4 v[27:30], v[3:4], off
	v_mov_b32_e32 v37, 0
	s_waitcnt vmcnt(0)
	ds_write_b128 v11, v[27:30]
	s_waitcnt lgkmcnt(0)
	s_barrier
	ds_read_b128 v[38:41], v14
	ds_read_b128 v[42:45], v6
	v_mov_b32_e32 v29, 0
	ds_read_b128 v[46:49], v6 offset:384
	s_waitcnt lgkmcnt(1)
	;;#ASMSTART
	v_dot2_f32_f16 v29, v38, v42, v29
	;;#ASMEND
	;;#ASMSTART
	v_dot2_f32_f16 v29, v39, v43, v29
	;;#ASMEND
	;;#ASMSTART
	v_dot2_f32_f16 v29, v40, v44, v29
	;;#ASMEND
	;;#ASMSTART
	v_dot2_f32_f16 v29, v41, v45, v29
	;;#ASMEND
	s_waitcnt lgkmcnt(0)
	;;#ASMSTART
	v_dot2_f32_f16 v37, v38, v46, v37
	;;#ASMEND
	;;#ASMSTART
	v_dot2_f32_f16 v37, v39, v47, v37
	;;#ASMEND
	;;#ASMSTART
	v_dot2_f32_f16 v37, v40, v48, v37
	;;#ASMEND
	;;#ASMSTART
	v_dot2_f32_f16 v37, v41, v49, v37
	;;#ASMEND
	ds_read_b128 v[38:41], v14 offset:16
	ds_read_b128 v[42:45], v6 offset:16
	ds_read_b128 v[46:49], v6 offset:400
	s_waitcnt lgkmcnt(1)
	;;#ASMSTART
	v_dot2_f32_f16 v29, v38, v42, v29
	;;#ASMEND
	;;#ASMSTART
	v_dot2_f32_f16 v29, v39, v43, v29
	;;#ASMEND
	;;#ASMSTART
	v_dot2_f32_f16 v29, v40, v44, v29
	;;#ASMEND
	;;#ASMSTART
	v_dot2_f32_f16 v29, v41, v45, v29
	;;#ASMEND
	s_waitcnt lgkmcnt(0)
	;;#ASMSTART
	v_dot2_f32_f16 v37, v38, v46, v37
	;;#ASMEND
	;;#ASMSTART
	v_dot2_f32_f16 v37, v39, v47, v37
	;;#ASMEND
	;;#ASMSTART
	v_dot2_f32_f16 v37, v40, v48, v37
	;;#ASMEND
	;;#ASMSTART
	v_dot2_f32_f16 v37, v41, v49, v37
	;;#ASMEND
	ds_read_b128 v[38:41], v14 offset:32
	ds_read_b128 v[42:45], v6 offset:32
	;; [unrolled: 29-line block ×7, first 2 shown]
	ds_read_b128 v[46:49], v6 offset:496
	s_waitcnt lgkmcnt(1)
	;;#ASMSTART
	v_dot2_f32_f16 v29, v38, v42, v29
	;;#ASMEND
	;;#ASMSTART
	v_dot2_f32_f16 v29, v39, v43, v29
	;;#ASMEND
	;; [unrolled: 3-line block ×4, first 2 shown]
	s_waitcnt lgkmcnt(0)
	;;#ASMSTART
	v_dot2_f32_f16 v37, v38, v46, v37
	;;#ASMEND
	;;#ASMSTART
	v_dot2_f32_f16 v37, v39, v47, v37
	;;#ASMEND
	;; [unrolled: 3-line block ×4, first 2 shown]
	s_barrier
	global_load_dwordx4 v[38:41], v[3:4], off offset:128
                                        ; implicit-def: $vgpr30
	s_waitcnt vmcnt(0)
	ds_write_b128 v11, v[38:41]
	s_waitcnt lgkmcnt(0)
	s_barrier
	ds_read_b128 v[38:41], v14
	ds_read_b128 v[42:45], v6 offset:128
	ds_read_b128 v[46:49], v6 offset:512
	s_waitcnt lgkmcnt(1)
	;;#ASMSTART
	v_dot2_f32_f16 v29, v38, v42, v29
	;;#ASMEND
	;;#ASMSTART
	v_dot2_f32_f16 v29, v39, v43, v29
	;;#ASMEND
	;;#ASMSTART
	v_dot2_f32_f16 v29, v40, v44, v29
	;;#ASMEND
	;;#ASMSTART
	v_dot2_f32_f16 v29, v41, v45, v29
	;;#ASMEND
	s_waitcnt lgkmcnt(0)
	;;#ASMSTART
	v_dot2_f32_f16 v37, v38, v46, v37
	;;#ASMEND
	;;#ASMSTART
	v_dot2_f32_f16 v37, v39, v47, v37
	;;#ASMEND
	;;#ASMSTART
	v_dot2_f32_f16 v37, v40, v48, v37
	;;#ASMEND
	;;#ASMSTART
	v_dot2_f32_f16 v37, v41, v49, v37
	;;#ASMEND
	ds_read_b128 v[38:41], v14 offset:16
	ds_read_b128 v[42:45], v6 offset:144
	ds_read_b128 v[46:49], v6 offset:528
	s_waitcnt lgkmcnt(1)
	;;#ASMSTART
	v_dot2_f32_f16 v29, v38, v42, v29
	;;#ASMEND
	;;#ASMSTART
	v_dot2_f32_f16 v29, v39, v43, v29
	;;#ASMEND
	;;#ASMSTART
	v_dot2_f32_f16 v29, v40, v44, v29
	;;#ASMEND
	;;#ASMSTART
	v_dot2_f32_f16 v29, v41, v45, v29
	;;#ASMEND
	s_waitcnt lgkmcnt(0)
	;;#ASMSTART
	v_dot2_f32_f16 v37, v38, v46, v37
	;;#ASMEND
	;;#ASMSTART
	v_dot2_f32_f16 v37, v39, v47, v37
	;;#ASMEND
	;;#ASMSTART
	v_dot2_f32_f16 v37, v40, v48, v37
	;;#ASMEND
	;;#ASMSTART
	v_dot2_f32_f16 v37, v41, v49, v37
	;;#ASMEND
	ds_read_b128 v[38:41], v14 offset:32
	;; [unrolled: 29-line block ×7, first 2 shown]
	ds_read_b128 v[42:45], v6 offset:240
	ds_read_b128 v[46:49], v6 offset:624
	s_waitcnt lgkmcnt(1)
	;;#ASMSTART
	v_dot2_f32_f16 v29, v38, v42, v29
	;;#ASMEND
	;;#ASMSTART
	v_dot2_f32_f16 v29, v39, v43, v29
	;;#ASMEND
	;; [unrolled: 3-line block ×4, first 2 shown]
	s_waitcnt lgkmcnt(0)
	;;#ASMSTART
	v_dot2_f32_f16 v37, v38, v46, v37
	;;#ASMEND
	;;#ASMSTART
	v_dot2_f32_f16 v37, v39, v47, v37
	;;#ASMEND
	;; [unrolled: 3-line block ×4, first 2 shown]
	s_barrier
	global_load_dwordx4 v[38:41], v[3:4], off offset:256
	v_add_u32_e32 v3, s6, v2
	v_ashrrev_i32_e32 v4, 31, v3
	v_lshlrev_b64 v[3:4], 1, v[3:4]
	v_add_co_u32_e32 v3, vcc, s30, v3
	v_addc_co_u32_e32 v4, vcc, v18, v4, vcc
	s_waitcnt vmcnt(0)
	ds_write_b128 v11, v[38:41]
	s_waitcnt lgkmcnt(0)
	s_barrier
	ds_read_b128 v[38:41], v14
	ds_read_b128 v[42:45], v6 offset:256
	ds_read_b128 v[46:49], v6 offset:640
	s_waitcnt lgkmcnt(1)
	;;#ASMSTART
	v_dot2_f32_f16 v29, v38, v42, v29
	;;#ASMEND
	;;#ASMSTART
	v_dot2_f32_f16 v29, v39, v43, v29
	;;#ASMEND
	;;#ASMSTART
	v_dot2_f32_f16 v29, v40, v44, v29
	;;#ASMEND
	;;#ASMSTART
	v_dot2_f32_f16 v29, v41, v45, v29
	;;#ASMEND
	s_waitcnt lgkmcnt(0)
	;;#ASMSTART
	v_dot2_f32_f16 v37, v38, v46, v37
	;;#ASMEND
	;;#ASMSTART
	v_dot2_f32_f16 v37, v39, v47, v37
	;;#ASMEND
	;;#ASMSTART
	v_dot2_f32_f16 v37, v40, v48, v37
	;;#ASMEND
	;;#ASMSTART
	v_dot2_f32_f16 v37, v41, v49, v37
	;;#ASMEND
	ds_read_b128 v[38:41], v14 offset:16
	ds_read_b128 v[42:45], v6 offset:272
	ds_read_b128 v[46:49], v6 offset:656
	s_waitcnt lgkmcnt(1)
	;;#ASMSTART
	v_dot2_f32_f16 v29, v38, v42, v29
	;;#ASMEND
	;;#ASMSTART
	v_dot2_f32_f16 v29, v39, v43, v29
	;;#ASMEND
	;;#ASMSTART
	v_dot2_f32_f16 v29, v40, v44, v29
	;;#ASMEND
	;;#ASMSTART
	v_dot2_f32_f16 v29, v41, v45, v29
	;;#ASMEND
	s_waitcnt lgkmcnt(0)
	;;#ASMSTART
	v_dot2_f32_f16 v37, v38, v46, v37
	;;#ASMEND
	;;#ASMSTART
	v_dot2_f32_f16 v37, v39, v47, v37
	;;#ASMEND
	;;#ASMSTART
	v_dot2_f32_f16 v37, v40, v48, v37
	;;#ASMEND
	;;#ASMSTART
	v_dot2_f32_f16 v37, v41, v49, v37
	;;#ASMEND
	ds_read_b128 v[38:41], v14 offset:32
	;; [unrolled: 29-line block ×7, first 2 shown]
	ds_read_b128 v[42:45], v6 offset:368
	ds_read_b128 v[46:49], v6 offset:752
	s_waitcnt lgkmcnt(1)
	;;#ASMSTART
	v_dot2_f32_f16 v29, v38, v42, v29
	;;#ASMEND
	;;#ASMSTART
	v_dot2_f32_f16 v29, v39, v43, v29
	;;#ASMEND
	;; [unrolled: 3-line block ×4, first 2 shown]
	s_waitcnt lgkmcnt(0)
	;;#ASMSTART
	v_dot2_f32_f16 v37, v38, v46, v37
	;;#ASMEND
	;;#ASMSTART
	v_dot2_f32_f16 v37, v39, v47, v37
	;;#ASMEND
	;; [unrolled: 3-line block ×4, first 2 shown]
	global_load_ushort v3, v[3:4], off
	v_cmp_nlt_f32_e64 s[8:9], |v29|, s10
	s_and_saveexec_b64 s[26:27], s[8:9]
	s_xor_b64 s[8:9], exec, s[26:27]
	s_cbranch_execz .LBB22_18
; %bb.17:                               ;   in Loop: Header=BB22_16 Depth=1
	v_add_f32_e64 v4, |v29|, |v29|
	v_mul_f32_e32 v27, 0x3fb8aa3b, v4
	v_rndne_f32_e32 v28, v27
	v_sub_f32_e32 v30, v27, v28
	v_fma_f32 v27, v4, s11, -v27
	v_fmac_f32_e32 v27, 0x32a5705f, v4
	v_add_f32_e32 v27, v30, v27
	v_cvt_i32_f32_e32 v28, v28
	v_exp_f32_e32 v27, v27
	v_cmp_ngt_f32_e32 vcc, s12, v4
	v_ldexp_f32 v27, v27, v28
	v_cndmask_b32_e32 v27, 0, v27, vcc
	v_cmp_nlt_f32_e32 vcc, s13, v4
	v_cndmask_b32_e32 v4, v22, v27, vcc
	v_add_f32_e32 v4, 1.0, v4
	v_rcp_f32_e32 v4, v4
	v_fma_f32 v30, v4, -2.0, 1.0
.LBB22_18:                              ;   in Loop: Header=BB22_16 Depth=1
	s_andn2_saveexec_b64 s[8:9], s[8:9]
; %bb.19:                               ;   in Loop: Header=BB22_16 Depth=1
	v_mul_f32_e32 v4, v29, v29
	v_mov_b32_e32 v27, 0x3ca908c9
	v_fmac_f32_e32 v27, 0xbbbac73d, v4
	v_fma_f32 v27, v4, v27, v19
	v_fma_f32 v27, v4, v27, v20
	;; [unrolled: 1-line block ×3, first 2 shown]
	v_mul_f32_e64 v27, |v29|, v27
	v_fma_f32 v30, v4, v27, |v29|
; %bb.20:                               ;   in Loop: Header=BB22_16 Depth=1
	s_or_b64 exec, exec, s[8:9]
	v_and_b32_e32 v4, 0x60, v10
	v_add_u32_e32 v27, 32, v4
	v_xor_b32_e32 v28, 16, v10
	v_bfi_b32 v29, s19, v30, v29
	v_cmp_lt_i32_e32 vcc, v28, v27
	s_waitcnt vmcnt(0)
	v_fma_mix_f32 v38, s14, v29, v3 op_sel_hi:[0,0,1]
	v_cndmask_b32_e32 v4, v10, v28, vcc
	v_add_f32_e32 v29, 0x40051340, v38
	v_max_f32_e32 v30, v36, v36
	v_lshlrev_b32_e32 v4, 2, v4
	v_max_f32_e32 v30, v30, v29
	ds_bpermute_b32 v31, v4, v30
	v_xor_b32_e32 v29, 8, v10
	v_cmp_lt_i32_e32 vcc, v29, v27
	v_cndmask_b32_e32 v32, v10, v29, vcc
	v_lshlrev_b32_e32 v39, 2, v32
	s_waitcnt lgkmcnt(0)
	v_max_f32_e32 v31, v31, v31
	v_max_f32_e32 v31, v30, v31
	ds_bpermute_b32 v32, v39, v31
	v_xor_b32_e32 v30, 4, v10
	v_cmp_lt_i32_e32 vcc, v30, v27
	v_cndmask_b32_e32 v40, v10, v30, vcc
	v_lshlrev_b32_e32 v40, 2, v40
	s_waitcnt lgkmcnt(0)
	v_max_f32_e32 v32, v32, v32
	v_max_f32_e32 v32, v31, v32
	ds_bpermute_b32 v42, v40, v32
	v_xor_b32_e32 v31, 2, v10
	v_cmp_lt_i32_e32 vcc, v31, v27
	v_cndmask_b32_e32 v41, v10, v31, vcc
	v_lshlrev_b32_e32 v41, 2, v41
	s_waitcnt lgkmcnt(0)
	v_max_f32_e32 v42, v42, v42
	v_max_f32_e32 v43, v32, v42
	ds_bpermute_b32 v44, v41, v43
	v_xor_b32_e32 v32, 1, v10
	v_cmp_lt_i32_e32 vcc, v32, v27
	v_cndmask_b32_e32 v42, v10, v32, vcc
	v_lshlrev_b32_e32 v42, 2, v42
	s_waitcnt lgkmcnt(0)
	v_max_f32_e32 v44, v44, v44
	v_max_f32_e32 v43, v43, v44
	ds_bpermute_b32 v44, v42, v43
	v_cmp_nlt_f32_e64 s[8:9], |v37|, s10
                                        ; implicit-def: $vgpr45
	s_and_saveexec_b64 s[26:27], s[8:9]
	s_xor_b64 s[8:9], exec, s[26:27]
	s_cbranch_execz .LBB22_22
; %bb.21:                               ;   in Loop: Header=BB22_16 Depth=1
	v_add_f32_e64 v45, |v37|, |v37|
	v_mul_f32_e32 v46, 0x3fb8aa3b, v45
	v_rndne_f32_e32 v47, v46
	v_sub_f32_e32 v48, v46, v47
	v_fma_f32 v46, v45, s11, -v46
	v_fmac_f32_e32 v46, 0x32a5705f, v45
	v_add_f32_e32 v46, v48, v46
	v_cvt_i32_f32_e32 v47, v47
	v_exp_f32_e32 v46, v46
	v_cmp_ngt_f32_e32 vcc, s12, v45
	v_ldexp_f32 v46, v46, v47
	v_cndmask_b32_e32 v46, 0, v46, vcc
	v_cmp_nlt_f32_e32 vcc, s13, v45
	v_cndmask_b32_e32 v45, v22, v46, vcc
	v_add_f32_e32 v45, 1.0, v45
	v_rcp_f32_e32 v45, v45
	v_fma_f32 v45, v45, -2.0, 1.0
.LBB22_22:                              ;   in Loop: Header=BB22_16 Depth=1
	s_andn2_saveexec_b64 s[8:9], s[8:9]
; %bb.23:                               ;   in Loop: Header=BB22_16 Depth=1
	v_mul_f32_e32 v45, v37, v37
	v_mov_b32_e32 v46, 0x3ca908c9
	v_fmac_f32_e32 v46, 0xbbbac73d, v45
	v_fma_f32 v46, v45, v46, v19
	v_fma_f32 v46, v45, v46, v20
	;; [unrolled: 1-line block ×3, first 2 shown]
	v_mul_f32_e64 v46, |v37|, v46
	v_fma_f32 v45, v45, v46, |v37|
; %bb.24:                               ;   in Loop: Header=BB22_16 Depth=1
	s_or_b64 exec, exec, s[8:9]
	v_cvt_f32_f16_e32 v46, v3
	v_bfi_b32 v37, s19, v45, v37
	s_waitcnt lgkmcnt(0)
	v_max_f32_e32 v3, v44, v44
	v_max_f32_e32 v43, v43, v43
	v_fmac_f32_e32 v46, s14, v37
	v_max_f32_e32 v3, v43, v3
	v_add_f32_e32 v37, 0x40051340, v46
	v_max_f32_e32 v43, v35, v35
	v_max_f32_e32 v37, v43, v37
	ds_bpermute_b32 v4, v4, v37
	v_sub_f32_e32 v36, v36, v3
	v_cmp_ngt_f32_e32 vcc, s12, v36
	s_mul_hi_i32 s9, s6, s15
	s_mul_i32 s8, s6, s15
	s_waitcnt lgkmcnt(0)
	v_max_f32_e32 v4, v4, v4
	v_max_f32_e32 v4, v37, v4
	ds_bpermute_b32 v37, v39, v4
	s_lshl_b64 s[8:9], s[8:9], 2
	s_waitcnt lgkmcnt(0)
	s_barrier
	v_max_f32_e32 v37, v37, v37
	v_max_f32_e32 v4, v4, v37
	ds_bpermute_b32 v37, v40, v4
	s_waitcnt lgkmcnt(0)
	v_max_f32_e32 v37, v37, v37
	v_max_f32_e32 v4, v4, v37
	ds_bpermute_b32 v37, v41, v4
	s_waitcnt lgkmcnt(0)
	;; [unrolled: 4-line block ×3, first 2 shown]
	v_max_f32_e32 v37, v37, v37
	v_max_f32_e32 v4, v4, v37
	v_mul_f32_e32 v37, 0x3fb8aa3b, v36
	v_fma_f32 v39, v36, s11, -v37
	v_rndne_f32_e32 v40, v37
	v_fmac_f32_e32 v39, 0x32a5705f, v36
	v_sub_f32_e32 v37, v37, v40
	v_add_f32_e32 v37, v37, v39
	v_exp_f32_e32 v37, v37
	v_cvt_i32_f32_e32 v39, v40
	v_sub_f32_e32 v35, v35, v4
	v_ldexp_f32 v37, v37, v39
	v_cndmask_b32_e32 v37, 0, v37, vcc
	v_cmp_nlt_f32_e32 vcc, s13, v36
	v_cndmask_b32_e32 v36, v22, v37, vcc
	v_sub_f32_e32 v37, v38, v3
	v_mul_f32_e32 v38, 0x3fb8aa3b, v37
	v_fma_f32 v39, v37, s11, -v38
	v_rndne_f32_e32 v40, v38
	v_fmac_f32_e32 v39, 0x32a5705f, v37
	v_sub_f32_e32 v38, v38, v40
	v_add_f32_e32 v38, v38, v39
	v_exp_f32_e32 v38, v38
	v_cvt_i32_f32_e32 v39, v40
	v_cmp_ngt_f32_e32 vcc, s12, v37
	v_ldexp_f32 v38, v38, v39
	v_cndmask_b32_e32 v38, 0, v38, vcc
	v_cmp_nlt_f32_e32 vcc, s13, v37
	v_cndmask_b32_e32 v37, v22, v38, vcc
	v_cvt_f16_f32_e32 v39, v37
	v_fmac_f32_e32 v37, v33, v36
	v_cvt_f16_f32_e32 v33, v36
	v_mul_f32_e32 v36, 0x3fb8aa3b, v35
	v_fma_f32 v38, v35, s11, -v36
	v_rndne_f32_e32 v40, v36
	v_fmac_f32_e32 v38, 0x32a5705f, v35
	v_sub_f32_e32 v36, v36, v40
	v_add_f32_e32 v36, v36, v38
	v_exp_f32_e32 v36, v36
	v_cvt_i32_f32_e32 v38, v40
	v_cmp_ngt_f32_e32 vcc, s12, v35
	v_mul_u32_u24_e32 v33, 0x10001, v33
	v_pk_mul_f16 v26, v26, v33
	v_ldexp_f32 v36, v36, v38
	v_cndmask_b32_e32 v36, 0, v36, vcc
	v_cmp_nlt_f32_e32 vcc, s13, v35
	v_cndmask_b32_e32 v35, v22, v36, vcc
	v_sub_f32_e32 v36, v46, v4
	v_mul_f32_e32 v38, 0x3fb8aa3b, v36
	v_fma_f32 v40, v36, s11, -v38
	v_rndne_f32_e32 v41, v38
	v_fmac_f32_e32 v40, 0x32a5705f, v36
	v_sub_f32_e32 v38, v38, v41
	v_add_f32_e32 v38, v38, v40
	v_exp_f32_e32 v38, v38
	v_cvt_i32_f32_e32 v40, v41
	v_cmp_ngt_f32_e32 vcc, s12, v36
	v_ldexp_f32 v38, v38, v40
	v_cndmask_b32_e32 v38, 0, v38, vcc
	v_cmp_nlt_f32_e32 vcc, s13, v36
	v_cndmask_b32_e32 v38, v22, v38, vcc
	v_cvt_f16_f32_e32 v36, v38
	v_fmac_f32_e32 v38, v34, v35
	v_cvt_f16_f32_e32 v34, v35
	v_pack_b32_f16 v36, v39, v36
	v_add_co_u32_e32 v39, vcc, s8, v16
	v_mul_u32_u24_e32 v35, 0x10001, v34
	v_pk_mul_f16 v34, v25, v35
	v_add_u32_e32 v25, v1, v9
	ds_write_b32 v25, v36
	v_mov_b32_e32 v25, s9
	v_addc_co_u32_e32 v40, vcc, v17, v25, vcc
	global_load_dwordx4 v[39:42], v[39:40], off
	v_add_u32_e32 v25, 0x1800, v5
	s_or_b32 s8, s6, 16
	s_mul_hi_i32 s9, s8, s15
	s_mul_i32 s8, s8, s15
	s_lshl_b64 s[8:9], s[8:9], 2
	s_waitcnt vmcnt(0)
	ds_write_b128 v15, v[39:42]
	s_waitcnt lgkmcnt(0)
	s_barrier
	ds_read2_b64 v[39:42], v25 offset1:32
	ds_read_b128 v[43:46], v1
	ds_read_b128 v[47:50], v1 offset:16
	ds_read_b128 v[51:54], v1 offset:32
	ds_read_b128 v[55:58], v1 offset:48
	s_waitcnt lgkmcnt(3)
	v_mul_u32_u24_sdwa v36, v43, s24 dst_sel:DWORD dst_unused:UNUSED_PAD src0_sel:WORD_0 src1_sel:DWORD
	v_mul_u32_u24_sdwa v43, v43, s24 dst_sel:DWORD dst_unused:UNUSED_PAD src0_sel:WORD_1 src1_sel:DWORD
	v_pk_mul_f16 v59, v39, v36
	v_pk_fma_f16 v24, v24, v33, v59
	v_pk_mul_f16 v33, v39, v43
	v_pk_fma_f16 v23, v23, v35, v33
	v_pk_fma_f16 v26, v40, v36, v26
	;; [unrolled: 1-line block ×3, first 2 shown]
	v_mul_u32_u24_sdwa v34, v44, s24 dst_sel:DWORD dst_unused:UNUSED_PAD src0_sel:WORD_0 src1_sel:DWORD
	v_mul_u32_u24_sdwa v35, v44, s24 dst_sel:DWORD dst_unused:UNUSED_PAD src0_sel:WORD_1 src1_sel:DWORD
	v_pk_fma_f16 v24, v41, v34, v24
	v_pk_fma_f16 v23, v41, v35, v23
	;; [unrolled: 1-line block ×4, first 2 shown]
	ds_read2_b64 v[33:36], v25 offset0:64 offset1:96
	v_mul_u32_u24_sdwa v40, v45, s24 dst_sel:DWORD dst_unused:UNUSED_PAD src0_sel:WORD_0 src1_sel:DWORD
	v_mul_u32_u24_sdwa v41, v45, s24 dst_sel:DWORD dst_unused:UNUSED_PAD src0_sel:WORD_1 src1_sel:DWORD
	s_waitcnt lgkmcnt(2)
	v_mul_u32_u24_sdwa v42, v51, s24 dst_sel:DWORD dst_unused:UNUSED_PAD src0_sel:WORD_1 src1_sel:DWORD
	s_waitcnt lgkmcnt(0)
	v_pk_fma_f16 v24, v33, v40, v24
	v_pk_fma_f16 v23, v33, v41, v23
	;; [unrolled: 1-line block ×4, first 2 shown]
	v_mul_u32_u24_sdwa v34, v46, s24 dst_sel:DWORD dst_unused:UNUSED_PAD src0_sel:WORD_0 src1_sel:DWORD
	v_mul_u32_u24_sdwa v39, v46, s24 dst_sel:DWORD dst_unused:UNUSED_PAD src0_sel:WORD_1 src1_sel:DWORD
	v_pk_fma_f16 v24, v35, v34, v24
	v_pk_fma_f16 v23, v35, v39, v23
	;; [unrolled: 1-line block ×4, first 2 shown]
	ds_read2_b64 v[33:36], v25 offset0:128 offset1:160
	v_mul_u32_u24_sdwa v40, v47, s24 dst_sel:DWORD dst_unused:UNUSED_PAD src0_sel:WORD_0 src1_sel:DWORD
	v_mul_u32_u24_sdwa v41, v47, s24 dst_sel:DWORD dst_unused:UNUSED_PAD src0_sel:WORD_1 src1_sel:DWORD
	s_waitcnt lgkmcnt(0)
	v_pk_fma_f16 v24, v33, v40, v24
	v_pk_fma_f16 v23, v33, v41, v23
	;; [unrolled: 1-line block ×4, first 2 shown]
	v_mul_u32_u24_sdwa v34, v48, s24 dst_sel:DWORD dst_unused:UNUSED_PAD src0_sel:WORD_0 src1_sel:DWORD
	v_mul_u32_u24_sdwa v39, v48, s24 dst_sel:DWORD dst_unused:UNUSED_PAD src0_sel:WORD_1 src1_sel:DWORD
	v_pk_fma_f16 v24, v35, v34, v24
	v_pk_fma_f16 v23, v35, v39, v23
	;; [unrolled: 1-line block ×4, first 2 shown]
	ds_read2_b64 v[33:36], v25 offset0:192 offset1:224
	v_mul_u32_u24_sdwa v40, v49, s24 dst_sel:DWORD dst_unused:UNUSED_PAD src0_sel:WORD_0 src1_sel:DWORD
	v_mul_u32_u24_sdwa v41, v49, s24 dst_sel:DWORD dst_unused:UNUSED_PAD src0_sel:WORD_1 src1_sel:DWORD
	s_waitcnt lgkmcnt(0)
	v_pk_fma_f16 v24, v33, v40, v24
	v_pk_fma_f16 v23, v33, v41, v23
	;; [unrolled: 1-line block ×3, first 2 shown]
	v_mul_u32_u24_sdwa v39, v50, s24 dst_sel:DWORD dst_unused:UNUSED_PAD src0_sel:WORD_1 src1_sel:DWORD
	v_pk_fma_f16 v26, v34, v40, v26
	v_mul_u32_u24_sdwa v34, v50, s24 dst_sel:DWORD dst_unused:UNUSED_PAD src0_sel:WORD_0 src1_sel:DWORD
	v_pk_fma_f16 v40, v35, v39, v23
	v_add_u32_e32 v23, 0x2000, v5
	v_pk_fma_f16 v24, v35, v34, v24
	v_pk_fma_f16 v26, v36, v34, v26
	;; [unrolled: 1-line block ×3, first 2 shown]
	ds_read2_b64 v[33:36], v23 offset1:32
	v_mul_u32_u24_sdwa v41, v51, s24 dst_sel:DWORD dst_unused:UNUSED_PAD src0_sel:WORD_0 src1_sel:DWORD
	s_waitcnt lgkmcnt(0)
	v_pk_fma_f16 v24, v33, v41, v24
	v_pk_fma_f16 v33, v33, v42, v40
	v_pk_fma_f16 v26, v34, v41, v26
	v_pk_fma_f16 v34, v34, v42, v39
	v_mul_u32_u24_sdwa v39, v52, s24 dst_sel:DWORD dst_unused:UNUSED_PAD src0_sel:WORD_0 src1_sel:DWORD
	v_mul_u32_u24_sdwa v40, v52, s24 dst_sel:DWORD dst_unused:UNUSED_PAD src0_sel:WORD_1 src1_sel:DWORD
	v_pk_fma_f16 v24, v35, v39, v24
	v_pk_fma_f16 v41, v35, v40, v33
	v_pk_fma_f16 v26, v36, v39, v26
	v_pk_fma_f16 v39, v36, v40, v34
	ds_read2_b64 v[33:36], v23 offset0:64 offset1:96
	v_mul_u32_u24_sdwa v40, v53, s24 dst_sel:DWORD dst_unused:UNUSED_PAD src0_sel:WORD_0 src1_sel:DWORD
	v_mul_u32_u24_sdwa v42, v53, s24 dst_sel:DWORD dst_unused:UNUSED_PAD src0_sel:WORD_1 src1_sel:DWORD
	s_waitcnt lgkmcnt(0)
	v_pk_fma_f16 v24, v33, v40, v24
	v_pk_fma_f16 v33, v33, v42, v41
	v_pk_fma_f16 v26, v34, v40, v26
	v_pk_fma_f16 v34, v34, v42, v39
	v_mul_u32_u24_sdwa v39, v54, s24 dst_sel:DWORD dst_unused:UNUSED_PAD src0_sel:WORD_0 src1_sel:DWORD
	v_mul_u32_u24_sdwa v40, v54, s24 dst_sel:DWORD dst_unused:UNUSED_PAD src0_sel:WORD_1 src1_sel:DWORD
	v_pk_fma_f16 v24, v35, v39, v24
	v_pk_fma_f16 v41, v35, v40, v33
	v_pk_fma_f16 v26, v36, v39, v26
	v_pk_fma_f16 v39, v36, v40, v34
	ds_read2_b64 v[33:36], v23 offset0:128 offset1:160
	v_mul_u32_u24_sdwa v40, v55, s24 dst_sel:DWORD dst_unused:UNUSED_PAD src0_sel:WORD_0 src1_sel:DWORD
	v_mul_u32_u24_sdwa v42, v55, s24 dst_sel:DWORD dst_unused:UNUSED_PAD src0_sel:WORD_1 src1_sel:DWORD
	s_waitcnt lgkmcnt(0)
	v_pk_fma_f16 v24, v33, v40, v24
	v_pk_fma_f16 v33, v33, v42, v41
	v_pk_fma_f16 v26, v34, v40, v26
	v_pk_fma_f16 v34, v34, v42, v39
	v_mul_u32_u24_sdwa v39, v56, s24 dst_sel:DWORD dst_unused:UNUSED_PAD src0_sel:WORD_0 src1_sel:DWORD
	v_mul_u32_u24_sdwa v40, v56, s24 dst_sel:DWORD dst_unused:UNUSED_PAD src0_sel:WORD_1 src1_sel:DWORD
	v_pk_fma_f16 v24, v35, v39, v24
	v_pk_fma_f16 v41, v35, v40, v33
	v_pk_fma_f16 v26, v36, v39, v26
	v_pk_fma_f16 v39, v36, v40, v34
	ds_read2_b64 v[33:36], v23 offset0:192 offset1:224
	v_mul_u32_u24_sdwa v40, v57, s24 dst_sel:DWORD dst_unused:UNUSED_PAD src0_sel:WORD_0 src1_sel:DWORD
	v_mul_u32_u24_sdwa v42, v57, s24 dst_sel:DWORD dst_unused:UNUSED_PAD src0_sel:WORD_1 src1_sel:DWORD
	s_waitcnt lgkmcnt(0)
	s_barrier
	v_pk_fma_f16 v24, v33, v40, v24
	v_pk_fma_f16 v33, v33, v42, v41
	v_pk_fma_f16 v26, v34, v40, v26
	v_pk_fma_f16 v34, v34, v42, v39
	v_mul_u32_u24_sdwa v40, v58, s24 dst_sel:DWORD dst_unused:UNUSED_PAD src0_sel:WORD_1 src1_sel:DWORD
	v_pk_fma_f16 v55, v35, v40, v33
	v_pk_fma_f16 v56, v36, v40, v34
	v_add_co_u32_e32 v33, vcc, s8, v16
	v_mov_b32_e32 v34, s9
	v_mul_u32_u24_sdwa v39, v58, s24 dst_sel:DWORD dst_unused:UNUSED_PAD src0_sel:WORD_0 src1_sel:DWORD
	v_addc_co_u32_e32 v34, vcc, v17, v34, vcc
	v_pk_fma_f16 v24, v35, v39, v24
	v_pk_fma_f16 v26, v36, v39, v26
	global_load_dwordx4 v[33:36], v[33:34], off
	s_waitcnt vmcnt(0)
	ds_write_b128 v15, v[33:36]
	s_waitcnt lgkmcnt(0)
	s_barrier
	ds_read2_b64 v[33:36], v25 offset1:32
	ds_read_b128 v[39:42], v1 offset:64
	ds_read_b128 v[43:46], v1 offset:80
	;; [unrolled: 1-line block ×4, first 2 shown]
	s_waitcnt lgkmcnt(3)
	v_mul_u32_u24_sdwa v57, v39, s24 dst_sel:DWORD dst_unused:UNUSED_PAD src0_sel:WORD_0 src1_sel:DWORD
	v_mul_u32_u24_sdwa v39, v39, s24 dst_sel:DWORD dst_unused:UNUSED_PAD src0_sel:WORD_1 src1_sel:DWORD
	v_pk_fma_f16 v24, v33, v57, v24
	v_pk_fma_f16 v33, v33, v39, v55
	v_pk_fma_f16 v26, v34, v57, v26
	v_pk_fma_f16 v34, v34, v39, v56
	v_mul_u32_u24_sdwa v39, v40, s24 dst_sel:DWORD dst_unused:UNUSED_PAD src0_sel:WORD_0 src1_sel:DWORD
	v_mul_u32_u24_sdwa v40, v40, s24 dst_sel:DWORD dst_unused:UNUSED_PAD src0_sel:WORD_1 src1_sel:DWORD
	v_pk_fma_f16 v24, v35, v39, v24
	v_pk_fma_f16 v55, v35, v40, v33
	v_pk_fma_f16 v26, v36, v39, v26
	v_pk_fma_f16 v39, v36, v40, v34
	ds_read2_b64 v[33:36], v25 offset0:64 offset1:96
	v_mul_u32_u24_sdwa v40, v41, s24 dst_sel:DWORD dst_unused:UNUSED_PAD src0_sel:WORD_0 src1_sel:DWORD
	v_mul_u32_u24_sdwa v41, v41, s24 dst_sel:DWORD dst_unused:UNUSED_PAD src0_sel:WORD_1 src1_sel:DWORD
	s_waitcnt lgkmcnt(0)
	v_pk_fma_f16 v24, v33, v40, v24
	v_pk_fma_f16 v33, v33, v41, v55
	v_pk_fma_f16 v26, v34, v40, v26
	v_pk_fma_f16 v34, v34, v41, v39
	v_mul_u32_u24_sdwa v39, v42, s24 dst_sel:DWORD dst_unused:UNUSED_PAD src0_sel:WORD_0 src1_sel:DWORD
	v_mul_u32_u24_sdwa v40, v42, s24 dst_sel:DWORD dst_unused:UNUSED_PAD src0_sel:WORD_1 src1_sel:DWORD
	v_pk_fma_f16 v24, v35, v39, v24
	v_pk_fma_f16 v41, v35, v40, v33
	v_pk_fma_f16 v26, v36, v39, v26
	v_pk_fma_f16 v39, v36, v40, v34
	ds_read2_b64 v[33:36], v25 offset0:128 offset1:160
	v_mul_u32_u24_sdwa v40, v43, s24 dst_sel:DWORD dst_unused:UNUSED_PAD src0_sel:WORD_0 src1_sel:DWORD
	v_mul_u32_u24_sdwa v42, v43, s24 dst_sel:DWORD dst_unused:UNUSED_PAD src0_sel:WORD_1 src1_sel:DWORD
	s_waitcnt lgkmcnt(0)
	;; [unrolled: 14-line block ×3, first 2 shown]
	v_pk_fma_f16 v24, v33, v25, v24
	v_pk_fma_f16 v33, v33, v40, v41
	;; [unrolled: 1-line block ×4, first 2 shown]
	v_mul_u32_u24_sdwa v34, v46, s24 dst_sel:DWORD dst_unused:UNUSED_PAD src0_sel:WORD_0 src1_sel:DWORD
	v_mul_u32_u24_sdwa v39, v46, s24 dst_sel:DWORD dst_unused:UNUSED_PAD src0_sel:WORD_1 src1_sel:DWORD
	v_pk_fma_f16 v24, v35, v34, v24
	v_pk_fma_f16 v40, v35, v39, v33
	;; [unrolled: 1-line block ×4, first 2 shown]
	ds_read2_b64 v[33:36], v23 offset1:32
	v_mul_u32_u24_sdwa v39, v47, s24 dst_sel:DWORD dst_unused:UNUSED_PAD src0_sel:WORD_0 src1_sel:DWORD
	v_mul_u32_u24_sdwa v41, v47, s24 dst_sel:DWORD dst_unused:UNUSED_PAD src0_sel:WORD_1 src1_sel:DWORD
	s_waitcnt lgkmcnt(0)
	v_pk_fma_f16 v24, v33, v39, v24
	v_pk_fma_f16 v33, v33, v41, v40
	v_pk_fma_f16 v25, v34, v39, v25
	v_pk_fma_f16 v26, v34, v41, v26
	v_mul_u32_u24_sdwa v34, v48, s24 dst_sel:DWORD dst_unused:UNUSED_PAD src0_sel:WORD_0 src1_sel:DWORD
	v_mul_u32_u24_sdwa v39, v48, s24 dst_sel:DWORD dst_unused:UNUSED_PAD src0_sel:WORD_1 src1_sel:DWORD
	v_pk_fma_f16 v24, v35, v34, v24
	v_pk_fma_f16 v40, v35, v39, v33
	v_pk_fma_f16 v25, v36, v34, v25
	v_pk_fma_f16 v26, v36, v39, v26
	ds_read2_b64 v[33:36], v23 offset0:64 offset1:96
	v_mul_u32_u24_sdwa v39, v49, s24 dst_sel:DWORD dst_unused:UNUSED_PAD src0_sel:WORD_0 src1_sel:DWORD
	v_mul_u32_u24_sdwa v41, v49, s24 dst_sel:DWORD dst_unused:UNUSED_PAD src0_sel:WORD_1 src1_sel:DWORD
	s_waitcnt lgkmcnt(0)
	v_pk_fma_f16 v24, v33, v39, v24
	v_pk_fma_f16 v33, v33, v41, v40
	v_pk_fma_f16 v25, v34, v39, v25
	v_pk_fma_f16 v26, v34, v41, v26
	v_mul_u32_u24_sdwa v34, v50, s24 dst_sel:DWORD dst_unused:UNUSED_PAD src0_sel:WORD_0 src1_sel:DWORD
	v_mul_u32_u24_sdwa v39, v50, s24 dst_sel:DWORD dst_unused:UNUSED_PAD src0_sel:WORD_1 src1_sel:DWORD
	v_pk_fma_f16 v24, v35, v34, v24
	v_pk_fma_f16 v40, v35, v39, v33
	v_pk_fma_f16 v25, v36, v34, v25
	v_pk_fma_f16 v26, v36, v39, v26
	ds_read2_b64 v[33:36], v23 offset0:128 offset1:160
	;; [unrolled: 14-line block ×3, first 2 shown]
	s_waitcnt lgkmcnt(0)
	s_barrier
	s_load_dword s8, s[0:1], 0x4
	v_mul_u32_u24_sdwa v23, v53, s24 dst_sel:DWORD dst_unused:UNUSED_PAD src0_sel:WORD_0 src1_sel:DWORD
	v_mul_u32_u24_sdwa v39, v53, s24 dst_sel:DWORD dst_unused:UNUSED_PAD src0_sel:WORD_1 src1_sel:DWORD
	v_pk_fma_f16 v24, v33, v23, v24
	v_pk_fma_f16 v33, v33, v39, v40
	s_waitcnt lgkmcnt(0)
	s_lshl_b32 s8, s8, 5
	v_pk_fma_f16 v25, v34, v23, v25
	v_pk_fma_f16 v34, v34, v39, v26
	v_mul_u32_u24_sdwa v26, v54, s24 dst_sel:DWORD dst_unused:UNUSED_PAD src0_sel:WORD_0 src1_sel:DWORD
	v_mul_u32_u24_sdwa v39, v54, s24 dst_sel:DWORD dst_unused:UNUSED_PAD src0_sel:WORD_1 src1_sel:DWORD
	s_add_i32 s6, s8, s6
	v_pk_fma_f16 v24, v35, v26, v24
	v_pk_fma_f16 v23, v35, v39, v33
	;; [unrolled: 1-line block ×4, first 2 shown]
	s_cmp_ge_i32 s6, s28
	s_cbranch_scc1 .LBB22_11
; %bb.25:                               ;   in Loop: Header=BB22_16 Depth=1
	v_mov_b32_e32 v36, v3
	v_mov_b32_e32 v35, v4
	;; [unrolled: 1-line block ×4, first 2 shown]
	s_branch .LBB22_16
.LBB22_26:
	v_mov_b32_e32 v6, v2
	v_mov_b32_e32 v5, v1
	v_cmp_gt_i32_e32 vcc, s2, v7
	s_and_saveexec_b64 s[0:1], vcc
	s_cbranch_execz .LBB22_13
.LBB22_27:
	s_load_dword s6, s[4:5], 0xd4
	v_mov_b32_e32 v10, 1.0
	s_waitcnt lgkmcnt(0)
	s_cmp_lg_u32 s6, 1
	s_cselect_b64 s[0:1], -1, 0
	s_cmp_eq_u32 s6, 1
	s_cselect_b64 s[4:5], -1, 0
	s_and_b64 vcc, exec, s[0:1]
	s_cbranch_vccnz .LBB22_29
; %bb.28:
	v_div_scale_f32 v10, s[8:9], v1, v1, 1.0
	v_div_scale_f32 v11, vcc, 1.0, v1, 1.0
	v_rcp_f32_e32 v12, v10
	v_fma_f32 v13, -v10, v12, 1.0
	v_fmac_f32_e32 v12, v13, v12
	v_mul_f32_e32 v13, v11, v12
	v_fma_f32 v14, -v10, v13, v11
	v_fmac_f32_e32 v13, v14, v12
	v_fma_f32 v10, -v10, v13, v11
	v_div_fmas_f32 v10, v10, v12, v13
	v_div_fixup_f32 v10, v10, v1, 1.0
.LBB22_29:
	s_mul_i32 s33, s33, s2
	v_add_u32_e32 v1, s33, v7
	v_mul_lo_u32 v1, v1, s3
	v_cmp_eq_u32_e32 vcc, 0, v0
	v_cvt_f32_f16_e32 v7, v24
	v_mov_b32_e32 v16, 0
	v_add3_u32 v0, s29, v8, v1
	v_mul_lo_u32 v0, s6, v0
	v_cvt_f32_f16_e32 v8, v26
	v_cvt_f32_f16_sdwa v1, v24 dst_sel:DWORD dst_unused:UNUSED_PAD src0_sel:WORD_1
	v_cvt_f32_f16_sdwa v14, v26 dst_sel:DWORD dst_unused:UNUSED_PAD src0_sel:WORD_1
	v_add_u32_e32 v0, s7, v0
	v_lshl_add_u32 v15, v0, 7, v9
	v_mul_f32_e32 v11, v10, v7
	v_mul_f32_e32 v13, v10, v8
	v_lshlrev_b64 v[7:8], 2, v[15:16]
	s_and_b64 s[0:1], vcc, s[0:1]
	v_mul_f32_e32 v12, v10, v1
	v_mov_b32_e32 v1, s21
	v_add_co_u32_e32 v7, vcc, s20, v7
	v_mul_f32_e32 v14, v10, v14
	v_addc_co_u32_e32 v8, vcc, v1, v8, vcc
	global_store_dwordx4 v[7:8], v[11:14], off
	s_and_saveexec_b64 s[2:3], s[0:1]
	s_cbranch_execz .LBB22_31
; %bb.30:
	v_ashrrev_i32_e32 v1, 31, v0
	v_lshlrev_b64 v[7:8], 3, v[0:1]
	v_mov_b32_e32 v1, s23
	v_add_co_u32_e32 v7, vcc, s22, v7
	v_addc_co_u32_e32 v8, vcc, v1, v8, vcc
	v_mov_b32_e32 v10, v3
	v_mov_b32_e32 v11, v5
	global_store_dwordx2 v[7:8], v[10:11], off
.LBB22_31:
	s_or_b64 exec, exec, s[2:3]
	s_andn2_b64 vcc, exec, s[4:5]
	v_mov_b32_e32 v1, 1.0
	s_cbranch_vccnz .LBB22_33
; %bb.32:
	v_div_scale_f32 v1, s[2:3], v2, v2, 1.0
	v_div_scale_f32 v3, vcc, 1.0, v2, 1.0
	v_rcp_f32_e32 v5, v1
	v_fma_f32 v7, -v1, v5, 1.0
	v_fmac_f32_e32 v5, v7, v5
	v_mul_f32_e32 v7, v3, v5
	v_fma_f32 v8, -v1, v7, v3
	v_fmac_f32_e32 v7, v8, v5
	v_fma_f32 v1, -v1, v7, v3
	v_div_fmas_f32 v1, v1, v5, v7
	v_div_fixup_f32 v1, v1, v2, 1.0
.LBB22_33:
	v_add_u32_e32 v0, s6, v0
	v_lshl_add_u32 v2, v0, 7, v9
	v_cvt_f32_f16_e32 v5, v23
	v_cvt_f32_f16_sdwa v8, v23 dst_sel:DWORD dst_unused:UNUSED_PAD src0_sel:WORD_1
	v_cvt_f32_f16_e32 v9, v25
	v_cvt_f32_f16_sdwa v10, v25 dst_sel:DWORD dst_unused:UNUSED_PAD src0_sel:WORD_1
	v_mov_b32_e32 v3, 0
	v_mul_f32_e32 v7, v1, v5
	v_mul_f32_e32 v8, v1, v8
	;; [unrolled: 1-line block ×4, first 2 shown]
	v_lshlrev_b64 v[1:2], 2, v[2:3]
	v_mov_b32_e32 v3, s21
	v_add_co_u32_e32 v1, vcc, s20, v1
	v_addc_co_u32_e32 v2, vcc, v3, v2, vcc
	global_store_dwordx4 v[1:2], v[7:10], off
	s_and_b64 exec, exec, s[0:1]
	s_cbranch_execz .LBB22_13
; %bb.34:
	v_ashrrev_i32_e32 v1, 31, v0
	v_lshlrev_b64 v[0:1], 3, v[0:1]
	v_mov_b32_e32 v2, s23
	v_add_co_u32_e32 v0, vcc, s22, v0
	v_addc_co_u32_e32 v1, vcc, v2, v1, vcc
	v_mov_b32_e32 v5, v4
	global_store_dwordx2 v[0:1], v[5:6], off
	s_endpgm
	.section	.rodata,"a",@progbits
	.p2align	6, 0x0
	.amdhsa_kernel _ZL15flash_attn_tileILi192ELi128ELi2ELi8ELb1EEvPKcS1_S1_S1_S1_PKiPfP15HIP_vector_typeIfLj2EEffffjfiS5_IjLj3EEiiiiiiiiiiiliiliiiiil
		.amdhsa_group_segment_fixed_size 11776
		.amdhsa_private_segment_fixed_size 0
		.amdhsa_kernarg_size 464
		.amdhsa_user_sgpr_count 6
		.amdhsa_user_sgpr_private_segment_buffer 1
		.amdhsa_user_sgpr_dispatch_ptr 0
		.amdhsa_user_sgpr_queue_ptr 0
		.amdhsa_user_sgpr_kernarg_segment_ptr 1
		.amdhsa_user_sgpr_dispatch_id 0
		.amdhsa_user_sgpr_flat_scratch_init 0
		.amdhsa_user_sgpr_private_segment_size 0
		.amdhsa_uses_dynamic_stack 0
		.amdhsa_system_sgpr_private_segment_wavefront_offset 0
		.amdhsa_system_sgpr_workgroup_id_x 1
		.amdhsa_system_sgpr_workgroup_id_y 1
		.amdhsa_system_sgpr_workgroup_id_z 1
		.amdhsa_system_sgpr_workgroup_info 0
		.amdhsa_system_vgpr_workitem_id 1
		.amdhsa_next_free_vgpr 60
		.amdhsa_next_free_sgpr 98
		.amdhsa_reserve_vcc 1
		.amdhsa_reserve_flat_scratch 0
		.amdhsa_float_round_mode_32 0
		.amdhsa_float_round_mode_16_64 0
		.amdhsa_float_denorm_mode_32 3
		.amdhsa_float_denorm_mode_16_64 3
		.amdhsa_dx10_clamp 1
		.amdhsa_ieee_mode 1
		.amdhsa_fp16_overflow 0
		.amdhsa_exception_fp_ieee_invalid_op 0
		.amdhsa_exception_fp_denorm_src 0
		.amdhsa_exception_fp_ieee_div_zero 0
		.amdhsa_exception_fp_ieee_overflow 0
		.amdhsa_exception_fp_ieee_underflow 0
		.amdhsa_exception_fp_ieee_inexact 0
		.amdhsa_exception_int_div_zero 0
	.end_amdhsa_kernel
	.section	.text._ZL15flash_attn_tileILi192ELi128ELi2ELi8ELb1EEvPKcS1_S1_S1_S1_PKiPfP15HIP_vector_typeIfLj2EEffffjfiS5_IjLj3EEiiiiiiiiiiiliiliiiiil,"axG",@progbits,_ZL15flash_attn_tileILi192ELi128ELi2ELi8ELb1EEvPKcS1_S1_S1_S1_PKiPfP15HIP_vector_typeIfLj2EEffffjfiS5_IjLj3EEiiiiiiiiiiiliiliiiiil,comdat
.Lfunc_end22:
	.size	_ZL15flash_attn_tileILi192ELi128ELi2ELi8ELb1EEvPKcS1_S1_S1_S1_PKiPfP15HIP_vector_typeIfLj2EEffffjfiS5_IjLj3EEiiiiiiiiiiiliiliiiiil, .Lfunc_end22-_ZL15flash_attn_tileILi192ELi128ELi2ELi8ELb1EEvPKcS1_S1_S1_S1_PKiPfP15HIP_vector_typeIfLj2EEffffjfiS5_IjLj3EEiiiiiiiiiiiliiliiiiil
                                        ; -- End function
	.set _ZL15flash_attn_tileILi192ELi128ELi2ELi8ELb1EEvPKcS1_S1_S1_S1_PKiPfP15HIP_vector_typeIfLj2EEffffjfiS5_IjLj3EEiiiiiiiiiiiliiliiiiil.num_vgpr, 60
	.set _ZL15flash_attn_tileILi192ELi128ELi2ELi8ELb1EEvPKcS1_S1_S1_S1_PKiPfP15HIP_vector_typeIfLj2EEffffjfiS5_IjLj3EEiiiiiiiiiiiliiliiiiil.num_agpr, 0
	.set _ZL15flash_attn_tileILi192ELi128ELi2ELi8ELb1EEvPKcS1_S1_S1_S1_PKiPfP15HIP_vector_typeIfLj2EEffffjfiS5_IjLj3EEiiiiiiiiiiiliiliiiiil.numbered_sgpr, 44
	.set _ZL15flash_attn_tileILi192ELi128ELi2ELi8ELb1EEvPKcS1_S1_S1_S1_PKiPfP15HIP_vector_typeIfLj2EEffffjfiS5_IjLj3EEiiiiiiiiiiiliiliiiiil.num_named_barrier, 0
	.set _ZL15flash_attn_tileILi192ELi128ELi2ELi8ELb1EEvPKcS1_S1_S1_S1_PKiPfP15HIP_vector_typeIfLj2EEffffjfiS5_IjLj3EEiiiiiiiiiiiliiliiiiil.private_seg_size, 0
	.set _ZL15flash_attn_tileILi192ELi128ELi2ELi8ELb1EEvPKcS1_S1_S1_S1_PKiPfP15HIP_vector_typeIfLj2EEffffjfiS5_IjLj3EEiiiiiiiiiiiliiliiiiil.uses_vcc, 1
	.set _ZL15flash_attn_tileILi192ELi128ELi2ELi8ELb1EEvPKcS1_S1_S1_S1_PKiPfP15HIP_vector_typeIfLj2EEffffjfiS5_IjLj3EEiiiiiiiiiiiliiliiiiil.uses_flat_scratch, 0
	.set _ZL15flash_attn_tileILi192ELi128ELi2ELi8ELb1EEvPKcS1_S1_S1_S1_PKiPfP15HIP_vector_typeIfLj2EEffffjfiS5_IjLj3EEiiiiiiiiiiiliiliiiiil.has_dyn_sized_stack, 0
	.set _ZL15flash_attn_tileILi192ELi128ELi2ELi8ELb1EEvPKcS1_S1_S1_S1_PKiPfP15HIP_vector_typeIfLj2EEffffjfiS5_IjLj3EEiiiiiiiiiiiliiliiiiil.has_recursion, 0
	.set _ZL15flash_attn_tileILi192ELi128ELi2ELi8ELb1EEvPKcS1_S1_S1_S1_PKiPfP15HIP_vector_typeIfLj2EEffffjfiS5_IjLj3EEiiiiiiiiiiiliiliiiiil.has_indirect_call, 0
	.section	.AMDGPU.csdata,"",@progbits
; Kernel info:
; codeLenInByte = 8724
; TotalNumSgprs: 48
; NumVgprs: 60
; ScratchSize: 0
; MemoryBound: 0
; FloatMode: 240
; IeeeMode: 1
; LDSByteSize: 11776 bytes/workgroup (compile time only)
; SGPRBlocks: 12
; VGPRBlocks: 14
; NumSGPRsForWavesPerEU: 102
; NumVGPRsForWavesPerEU: 60
; Occupancy: 4
; WaveLimiterHint : 1
; COMPUTE_PGM_RSRC2:SCRATCH_EN: 0
; COMPUTE_PGM_RSRC2:USER_SGPR: 6
; COMPUTE_PGM_RSRC2:TRAP_HANDLER: 0
; COMPUTE_PGM_RSRC2:TGID_X_EN: 1
; COMPUTE_PGM_RSRC2:TGID_Y_EN: 1
; COMPUTE_PGM_RSRC2:TGID_Z_EN: 1
; COMPUTE_PGM_RSRC2:TIDIG_COMP_CNT: 1
	.section	.text._ZL15flash_attn_tileILi192ELi128ELi1ELi8ELb1EEvPKcS1_S1_S1_S1_PKiPfP15HIP_vector_typeIfLj2EEffffjfiS5_IjLj3EEiiiiiiiiiiiliiliiiiil,"axG",@progbits,_ZL15flash_attn_tileILi192ELi128ELi1ELi8ELb1EEvPKcS1_S1_S1_S1_PKiPfP15HIP_vector_typeIfLj2EEffffjfiS5_IjLj3EEiiiiiiiiiiiliiliiiiil,comdat
	.globl	_ZL15flash_attn_tileILi192ELi128ELi1ELi8ELb1EEvPKcS1_S1_S1_S1_PKiPfP15HIP_vector_typeIfLj2EEffffjfiS5_IjLj3EEiiiiiiiiiiiliiliiiiil ; -- Begin function _ZL15flash_attn_tileILi192ELi128ELi1ELi8ELb1EEvPKcS1_S1_S1_S1_PKiPfP15HIP_vector_typeIfLj2EEffffjfiS5_IjLj3EEiiiiiiiiiiiliiliiiiil
	.p2align	8
	.type	_ZL15flash_attn_tileILi192ELi128ELi1ELi8ELb1EEvPKcS1_S1_S1_S1_PKiPfP15HIP_vector_typeIfLj2EEffffjfiS5_IjLj3EEiiiiiiiiiiiliiliiiiil,@function
_ZL15flash_attn_tileILi192ELi128ELi1ELi8ELb1EEvPKcS1_S1_S1_S1_PKiPfP15HIP_vector_typeIfLj2EEffffjfiS5_IjLj3EEiiiiiiiiiiiliiliiiiil: ; @_ZL15flash_attn_tileILi192ELi128ELi1ELi8ELb1EEvPKcS1_S1_S1_S1_PKiPfP15HIP_vector_typeIfLj2EEffffjfiS5_IjLj3EEiiiiiiiiiiiliiliiiiil
; %bb.0:
	s_load_dwordx4 s[0:3], s[4:5], 0x5c
	s_load_dwordx2 s[28:29], s[4:5], 0x80
	s_load_dwordx2 s[34:35], s[4:5], 0xb8
	s_mov_b64 s[30:31], 0
	s_waitcnt lgkmcnt(0)
	s_ashr_i32 s9, s3, 31
	s_lshr_b32 s9, s9, 29
	s_add_i32 s9, s3, s9
	s_ashr_i32 s9, s9, 3
	v_cvt_f32_u32_e32 v2, s9
	s_sub_i32 s10, 0, s9
	v_rcp_iflag_f32_e32 v2, v2
	v_mul_f32_e32 v2, 0x4f7ffffe, v2
	v_cvt_u32_f32_e32 v2, v2
	v_readfirstlane_b32 s11, v2
	s_mul_i32 s10, s10, s11
	s_mul_hi_u32 s10, s11, s10
	s_add_i32 s11, s11, s10
	s_mul_hi_u32 s10, s8, s11
	s_mul_i32 s11, s10, s9
	s_sub_i32 s11, s8, s11
	s_add_i32 s12, s10, 1
	s_sub_i32 s13, s11, s9
	s_cmp_ge_u32 s11, s9
	s_cselect_b32 s10, s12, s10
	s_cselect_b32 s11, s13, s11
	s_add_i32 s12, s10, 1
	s_cmp_ge_u32 s11, s9
	s_cselect_b32 s33, s12, s10
	s_abs_i32 s9, s29
	v_cvt_f32_u32_e32 v2, s9
	s_lshl_b32 s8, s8, 3
	s_mul_i32 s12, s33, s3
	s_xor_b32 s10, s3, s29
	v_rcp_iflag_f32_e32 v2, v2
	s_sub_i32 s13, 0, s9
	s_sub_i32 s29, s8, s12
	s_abs_i32 s11, s3
	v_mul_f32_e32 v2, 0x4f7ffffe, v2
	v_cvt_u32_f32_e32 v2, v2
	s_ashr_i32 s10, s10, 31
	v_readfirstlane_b32 s8, v2
	s_mul_i32 s13, s13, s8
	s_mul_hi_u32 s12, s8, s13
	s_add_i32 s8, s8, s12
	s_mul_hi_u32 s8, s11, s8
	s_mul_i32 s12, s8, s9
	s_sub_i32 s11, s11, s12
	s_add_i32 s13, s8, 1
	s_sub_i32 s12, s11, s9
	s_cmp_ge_u32 s11, s9
	s_cselect_b32 s8, s13, s8
	s_cselect_b32 s11, s12, s11
	s_add_i32 s12, s8, 1
	s_cmp_ge_u32 s11, s9
	s_cselect_b32 s8, s12, s8
	s_xor_b32 s8, s8, s10
	s_sub_i32 s37, s8, s10
	s_abs_i32 s36, s37
	v_cvt_f32_u32_e32 v2, s36
	s_load_dwordx16 s[8:23], s[4:5], 0x0
	v_rcp_iflag_f32_e32 v2, v2
	s_waitcnt lgkmcnt(0)
	s_cmp_eq_u64 s[14:15], 0
	v_mul_f32_e32 v2, 0x4f7ffffe, v2
	v_cvt_u32_f32_e32 v2, v2
	v_readfirstlane_b32 s38, v2
	s_cbranch_scc1 .LBB23_2
; %bb.1:
	s_abs_i32 s26, s34
	v_cvt_f32_u32_e32 v2, s26
	s_sub_i32 s31, 0, s26
	s_abs_i32 s30, s33
	s_ashr_i32 s27, s33, 31
	v_rcp_iflag_f32_e32 v2, v2
	s_load_dwordx2 s[24:25], s[4:5], 0xc8
	v_mul_f32_e32 v2, 0x4f7ffffe, v2
	v_cvt_u32_f32_e32 v2, v2
	v_readfirstlane_b32 s34, v2
	s_mul_i32 s31, s31, s34
	s_mul_hi_u32 s31, s34, s31
	s_add_i32 s34, s34, s31
	s_mul_hi_u32 s31, s30, s34
	s_mul_i32 s31, s31, s26
	s_sub_i32 s30, s30, s31
	s_sub_i32 s31, s30, s26
	s_cmp_ge_u32 s30, s26
	s_cselect_b32 s30, s31, s30
	s_sub_i32 s31, s30, s26
	s_cmp_ge_u32 s30, s26
	s_cselect_b32 s26, s31, s30
	s_xor_b32 s26, s26, s27
	s_sub_i32 s26, s26, s27
	s_ashr_i32 s27, s26, 31
	s_waitcnt lgkmcnt(0)
	s_mul_hi_u32 s30, s24, s26
	s_mul_i32 s27, s24, s27
	s_mul_i32 s25, s25, s26
	s_add_i32 s27, s30, s27
	s_add_i32 s27, s27, s25
	s_mul_i32 s24, s24, s26
	s_add_u32 s30, s14, s24
	s_addc_u32 s31, s15, s27
.LBB23_2:
	s_load_dwordx4 s[24:27], s[4:5], 0x70
	v_lshrrev_b32_e32 v2, 3, v1
	v_add_u32_e32 v15, s6, v2
	v_mul_hi_u32 v4, s0, v15
	v_and_b32_e32 v16, 7, v1
	s_waitcnt lgkmcnt(0)
	s_mul_i32 s14, s33, s26
	s_ashr_i32 s26, s14, 31
	s_mul_i32 s15, s29, s25
	s_add_u32 s8, s8, s14
	v_add_u32_e32 v4, v15, v4
	s_addc_u32 s9, s9, s26
	s_ashr_i32 s14, s15, 31
	v_lshrrev_b32_e32 v4, s1, v4
	s_add_u32 s26, s8, s15
	v_mul_lo_u32 v4, v4, s2
	s_addc_u32 s27, s9, s14
	s_ashr_i32 s9, s25, 31
	s_mov_b32 s8, s25
	s_lshr_b64 s[14:15], s[8:9], 2
	v_mad_u64_u32 v[2:3], s[14:15], s14, v16, 0
	s_ashr_i32 s25, s24, 31
	v_sub_u32_e32 v4, v15, v4
	s_lshr_b64 s[0:1], s[24:25], 2
	v_mad_u64_u32 v[5:6], s[0:1], s0, v4, 0
	s_lshr_b32 s0, s9, 2
	v_mad_u64_u32 v[7:8], s[0:1], s0, v16, v[3:4]
	v_mov_b32_e32 v3, v6
	s_lshr_b32 s0, s25, 2
	v_mad_u64_u32 v[8:9], s[0:1], s0, v4, v[3:4]
	v_mov_b32_e32 v3, v7
	v_lshlrev_b64 v[2:3], 2, v[2:3]
	v_mov_b32_e32 v6, v8
	v_mov_b32_e32 v7, s27
	v_add_co_u32_e32 v8, vcc, s26, v2
	v_addc_co_u32_e32 v7, vcc, v7, v3, vcc
	v_lshlrev_b64 v[2:3], 2, v[5:6]
	v_lshlrev_b32_e32 v5, 4, v0
	v_add_co_u32_e32 v2, vcc, v8, v2
	v_addc_co_u32_e32 v3, vcc, v7, v3, vcc
	v_add_co_u32_e32 v2, vcc, v2, v5
	v_addc_co_u32_e32 v3, vcc, 0, v3, vcc
	global_load_dwordx4 v[6:9], v[2:3], off
	s_load_dword s8, s[4:5], 0x40
	s_movk_i32 s0, 0x180
	v_mov_b32_e32 v5, 0x2400
	v_lshlrev_b32_e32 v18, 3, v0
	v_mad_u32_u24 v19, v1, s0, v5
	v_add_u32_e32 v5, v19, v18
	v_cmp_gt_u32_e32 vcc, 16, v0
	s_waitcnt vmcnt(0) lgkmcnt(0)
	v_fma_mixlo_f16 v6, s8, v6, 0
	v_fma_mixlo_f16 v7, s8, v7, 0
	;; [unrolled: 1-line block ×4, first 2 shown]
	v_lshlrev_b32_e32 v7, 16, v7
	v_and_b32_e32 v6, 0xffff, v6
	v_lshlrev_b32_e32 v9, 16, v9
	v_and_b32_e32 v8, 0xffff, v8
	v_or_b32_e32 v6, v7, v6
	v_or3_b32 v7, v9, v8, 0
	v_or3_b32 v6, 0, 0, v6
	ds_write_b64 v5, v[6:7]
	s_and_saveexec_b64 s[0:1], vcc
	s_cbranch_execz .LBB23_4
; %bb.3:
	global_load_dwordx4 v[6:9], v[2:3], off offset:512
	s_waitcnt vmcnt(0)
	v_fma_mixlo_f16 v2, s8, v6, 0
	v_fma_mixlo_f16 v3, s8, v7, 0
	;; [unrolled: 1-line block ×4, first 2 shown]
	v_lshlrev_b32_e32 v3, 16, v3
	v_and_b32_e32 v2, 0xffff, v2
	v_lshlrev_b32_e32 v7, 16, v7
	v_and_b32_e32 v6, 0xffff, v6
	v_or_b32_e32 v2, v3, v2
	v_or3_b32 v3, v7, v6, 0
	v_or3_b32 v2, 0, 0, v2
	ds_write_b64 v5, v[2:3] offset:256
.LBB23_4:
	s_or_b64 exec, exec, s[0:1]
	s_cmp_eq_u64 s[18:19], 0
	s_waitcnt lgkmcnt(0)
	s_barrier
	s_cbranch_scc1 .LBB23_6
; %bb.5:
	s_load_dword s0, s[4:5], 0xd0
	s_mov_b32 s1, 0
	s_waitcnt lgkmcnt(0)
	s_mul_i32 s0, s0, s33
	s_add_i32 s0, s0, s6
	s_lshl_b64 s[0:1], s[0:1], 2
	s_add_u32 s0, s18, s0
	s_addc_u32 s1, s19, s1
	s_load_dword s28, s[0:1], 0x0
.LBB23_6:
	s_lshl_b32 s6, s7, 6
	s_waitcnt lgkmcnt(0)
	s_cmp_lt_i32 s6, s28
	v_mbcnt_lo_u32_b32 v11, -1, 0
	s_cbranch_scc1 .LBB23_14
; %bb.7:
	v_mbcnt_hi_u32_b32 v20, -1, v11
	v_and_b32_e32 v2, 0x60, v20
	v_add_u32_e32 v13, 32, v2
	v_xor_b32_e32 v41, 16, v20
	v_xor_b32_e32 v40, 8, v20
	;; [unrolled: 1-line block ×5, first 2 shown]
	v_lshlrev_b32_e32 v17, 2, v0
	s_cbranch_execz .LBB23_15
; %bb.8:
	v_mov_b32_e32 v35, 0
	v_mov_b32_e32 v11, 0
	;; [unrolled: 1-line block ×4, first 2 shown]
.LBB23_9:
	v_cmp_lt_i32_e32 vcc, v41, v13
	v_cndmask_b32_e32 v2, v20, v41, vcc
	v_lshlrev_b32_e32 v2, 2, v2
	ds_bpermute_b32 v2, v2, v11
	v_cmp_lt_i32_e32 vcc, v40, v13
	v_cndmask_b32_e32 v3, v20, v40, vcc
	v_lshlrev_b32_e32 v3, 2, v3
	v_cmp_lt_i32_e32 vcc, v39, v13
	s_waitcnt lgkmcnt(0)
	v_add_f32_e32 v2, v11, v2
	ds_bpermute_b32 v3, v3, v2
	v_cndmask_b32_e32 v4, v20, v39, vcc
	v_lshlrev_b32_e32 v4, 2, v4
	v_cmp_lt_i32_e32 vcc, v38, v13
	s_cmp_lg_u64 s[16:17], 0
	s_waitcnt lgkmcnt(0)
	v_add_f32_e32 v2, v2, v3
	ds_bpermute_b32 v3, v4, v2
	v_cndmask_b32_e32 v4, v20, v38, vcc
	v_lshlrev_b32_e32 v4, 2, v4
	v_cmp_lt_i32_e32 vcc, v14, v13
	v_cndmask_b32_e32 v5, v20, v14, vcc
	s_waitcnt lgkmcnt(0)
	v_add_f32_e32 v2, v2, v3
	ds_bpermute_b32 v4, v4, v2
	v_lshlrev_b32_e32 v5, 2, v5
	s_cselect_b64 s[0:1], -1, 0
	s_cmp_eq_u32 s7, 0
	s_cselect_b64 s[8:9], -1, 0
	s_waitcnt lgkmcnt(0)
	v_add_f32_e32 v2, v2, v4
	ds_bpermute_b32 v4, v5, v2
	s_and_b64 s[0:1], s[8:9], s[0:1]
	v_add_u32_e32 v3, s29, v16
	s_and_b64 vcc, exec, s[0:1]
	s_waitcnt lgkmcnt(0)
	v_add_f32_e32 v2, v2, v4
	s_cbranch_vccz .LBB23_11
; %bb.10:
	v_ashrrev_i32_e32 v4, 31, v3
	v_lshlrev_b64 v[4:5], 2, v[3:4]
	v_mov_b32_e32 v6, s17
	v_add_co_u32_e32 v4, vcc, s16, v4
	v_addc_co_u32_e32 v5, vcc, v6, v5, vcc
	global_load_dword v4, v[4:5], off
	v_max_f32_e32 v5, v1, v1
	s_mov_b32 s0, 0x3fb8aa3b
	s_mov_b32 s1, 0xc2ce8ed0
	s_waitcnt vmcnt(0)
	v_max_f32_e32 v6, v4, v4
	v_max_f32_e32 v5, v5, v6
	v_sub_f32_e32 v1, v1, v5
	v_sub_f32_e32 v4, v4, v5
	v_mul_f32_e32 v6, 0x3fb8aa3b, v1
	v_mul_f32_e32 v7, 0x3fb8aa3b, v4
	v_fma_f32 v8, v1, s0, -v6
	v_rndne_f32_e32 v9, v6
	v_fma_f32 v10, v4, s0, -v7
	v_rndne_f32_e32 v11, v7
	v_fmac_f32_e32 v8, 0x32a5705f, v1
	v_sub_f32_e32 v6, v6, v9
	v_fmac_f32_e32 v10, 0x32a5705f, v4
	v_sub_f32_e32 v7, v7, v11
	v_add_f32_e32 v6, v6, v8
	v_cvt_i32_f32_e32 v9, v9
	v_add_f32_e32 v7, v7, v10
	v_exp_f32_e32 v6, v6
	v_cvt_i32_f32_e32 v11, v11
	v_exp_f32_e32 v7, v7
	v_cmp_ngt_f32_e32 vcc, s1, v1
	v_ldexp_f32 v6, v6, v9
	s_mov_b32 s0, 0x42b17218
	v_ldexp_f32 v7, v7, v11
	v_cndmask_b32_e32 v6, 0, v6, vcc
	v_cmp_ngt_f32_e32 vcc, s1, v4
	v_mov_b32_e32 v8, 0x7f800000
	v_cndmask_b32_e32 v7, 0, v7, vcc
	v_cmp_nlt_f32_e32 vcc, s0, v1
	v_cndmask_b32_e32 v1, v8, v6, vcc
	v_cvt_f16_f32_e32 v6, v1
	v_cmp_nlt_f32_e32 vcc, s0, v4
	v_cndmask_b32_e32 v4, v8, v7, vcc
	v_fmac_f32_e32 v4, v2, v1
	v_mul_u32_u24_e32 v1, 0x10001, v6
	v_mov_b32_e32 v2, v4
	v_pk_mul_f16 v34, v34, v1
	v_pk_mul_f16 v35, v35, v1
	v_mov_b32_e32 v1, v5
.LBB23_11:
	v_div_scale_f32 v4, s[0:1], v2, v2, 1.0
	v_div_scale_f32 v6, vcc, 1.0, v2, 1.0
	s_mul_i32 s33, s33, s2
	s_load_dword s4, s[4:5], 0xd4
	v_cmp_eq_u32_e64 s[0:1], 0, v0
	v_add_u32_e32 v0, s33, v15
	v_mov_b32_e32 v5, 0
	v_cvt_f32_f16_e32 v10, v35
	v_cvt_f32_f16_sdwa v11, v35 dst_sel:DWORD dst_unused:UNUSED_PAD src0_sel:WORD_1
	s_waitcnt lgkmcnt(0)
	s_cmp_lg_u32 s4, 1
	v_rcp_f32_e32 v7, v4
	v_fma_f32 v8, -v4, v7, 1.0
	v_fmac_f32_e32 v7, v8, v7
	v_mul_f32_e32 v8, v6, v7
	v_fma_f32 v9, -v4, v8, v6
	v_fmac_f32_e32 v8, v9, v7
	v_fma_f32 v4, -v4, v8, v6
	v_div_fmas_f32 v6, v4, v7, v8
	v_mad_u64_u32 v[3:4], s[2:3], v0, s3, v[3:4]
	v_cvt_f32_f16_e32 v0, v34
	v_cvt_f32_f16_sdwa v7, v34 dst_sel:DWORD dst_unused:UNUSED_PAD src0_sel:WORD_1
	v_mul_lo_u32 v3, s4, v3
	s_cselect_b64 s[2:3], -1, 0
	v_mov_b32_e32 v9, s21
	s_and_b64 s[0:1], s[0:1], s[2:3]
	v_add_u32_e32 v3, s7, v3
	v_lshl_add_u32 v4, v3, 7, v17
	v_lshlrev_b64 v[4:5], 2, v[4:5]
	v_add_co_u32_e32 v8, vcc, s20, v4
	v_addc_co_u32_e32 v9, vcc, v9, v5, vcc
	v_div_fixup_f32 v4, v6, v2, 1.0
	v_cndmask_b32_e64 v12, v4, 1.0, s[2:3]
	v_mul_f32_e32 v4, v12, v0
	v_mul_f32_e32 v5, v12, v7
	;; [unrolled: 1-line block ×4, first 2 shown]
	global_store_dwordx4 v[8:9], v[4:7], off
	s_and_saveexec_b64 s[2:3], s[0:1]
	s_cbranch_execz .LBB23_13
; %bb.12:
	v_ashrrev_i32_e32 v4, 31, v3
	v_lshlrev_b64 v[3:4], 3, v[3:4]
	v_mov_b32_e32 v0, s23
	v_add_co_u32_e32 v3, vcc, s22, v3
	v_addc_co_u32_e32 v4, vcc, v0, v4, vcc
	global_store_dwordx2 v[3:4], v[1:2], off
.LBB23_13:
	s_endpgm
.LBB23_14:
                                        ; implicit-def: $vgpr20
                                        ; implicit-def: $vgpr13
                                        ; implicit-def: $vgpr41
                                        ; implicit-def: $vgpr40
                                        ; implicit-def: $vgpr39
                                        ; implicit-def: $vgpr38
                                        ; implicit-def: $vgpr14
	v_lshlrev_b32_e32 v17, 2, v0
.LBB23_15:
	s_sub_i32 s0, 0, s36
	s_mul_i32 s0, s0, s38
	s_mul_hi_u32 s0, s38, s0
	s_add_i32 s38, s38, s0
	s_load_dwordx4 s[24:27], s[4:5], 0x98
	s_load_dword s14, s[4:5], 0x54
	s_load_dwordx2 s[0:1], s[4:5], 0x8c
	s_abs_i32 s19, s29
	s_mul_hi_u32 s34, s19, s38
	s_waitcnt lgkmcnt(0)
	s_ashr_i32 s15, s26, 2
	s_ashr_i32 s26, s35, 1
	;; [unrolled: 1-line block ×4, first 2 shown]
	s_mul_hi_u32 s35, s24, s33
	s_mul_i32 s39, s24, s0
	s_add_i32 s35, s35, s39
	s_mul_i32 s25, s25, s33
	s_ashr_i32 s38, s29, 31
	s_ashr_i32 s37, s37, 31
	s_add_i32 s35, s35, s25
	s_mul_i32 s24, s24, s33
	s_add_u32 s10, s10, s24
	s_mul_i32 s25, s34, s36
	s_addc_u32 s11, s11, s35
	s_sub_i32 s19, s19, s25
	s_xor_b32 s24, s38, s37
	s_add_i32 s25, s34, 1
	s_sub_i32 s35, s19, s36
	s_cmp_ge_u32 s19, s36
	s_cselect_b32 s25, s25, s34
	s_cselect_b32 s19, s35, s19
	s_add_i32 s34, s25, 1
	s_cmp_ge_u32 s19, s36
	s_load_dwordx2 s[8:9], s[4:5], 0xa8
	s_cselect_b32 s19, s34, s25
	s_xor_b32 s19, s19, s24
	s_sub_i32 s19, s19, s24
	s_mul_i32 s1, s19, s1
	s_ashr_i32 s24, s1, 31
	s_add_u32 s10, s10, s1
	s_waitcnt lgkmcnt(0)
	s_mul_hi_u32 s1, s8, s33
	s_mul_i32 s0, s8, s0
	s_addc_u32 s11, s11, s24
	s_add_i32 s0, s1, s0
	s_mul_i32 s1, s9, s33
	s_add_i32 s0, s0, s1
	s_mul_i32 s1, s8, s33
	s_add_u32 s1, s12, s1
	s_mul_i32 s19, s19, s27
	s_addc_u32 s0, s13, s0
	s_ashr_i32 s8, s19, 31
	s_add_u32 s12, s1, s19
	v_lshrrev_b32_e32 v2, 3, v0
	v_and_b32_e32 v14, 28, v17
	s_addc_u32 s13, s0, s8
	v_lshl_add_u32 v2, v1, 2, v2
	v_lshlrev_b32_e32 v3, 2, v14
	s_movk_i32 s0, 0x90
	v_mul_lo_u32 v5, s18, v2
	v_mad_u32_u24 v21, v2, s0, v3
	v_mad_u64_u32 v[2:3], s[0:1], v4, s26, v[0:1]
	v_mov_b32_e32 v3, 0x3000
	v_lshl_add_u32 v24, v1, 7, v3
	v_lshrrev_b32_e32 v3, 4, v0
	v_lshl_add_u32 v1, v1, 1, v3
	v_mul_lo_u32 v9, s15, v1
	v_lshl_add_u32 v7, s18, 5, v5
	v_and_b32_e32 v20, 60, v17
	v_ashrrev_i32_e32 v6, 31, v5
	v_lshl_add_u32 v12, s15, 4, v9
	v_ashrrev_i32_e32 v8, 31, v7
	v_lshlrev_b32_e32 v3, 2, v20
	v_ashrrev_i32_e32 v10, 31, v9
	v_ashrrev_i32_e32 v13, 31, v12
	v_lshl_or_b32 v26, v1, 8, v3
	s_add_u32 s0, s4, 0xd0
	v_lshlrev_b64 v[3:4], 2, v[5:6]
	v_lshlrev_b64 v[5:6], 2, v[7:8]
	;; [unrolled: 1-line block ×4, first 2 shown]
	v_mov_b32_e32 v34, 0
	v_add_u32_e32 v22, 0x1200, v21
	v_mul_u32_u24_e32 v23, 0x90, v0
	v_lshl_add_u32 v25, v0, 1, v24
	v_add_u32_e32 v27, 0x1000, v26
	s_addc_u32 s1, s5, 0
	v_mov_b32_e32 v37, 0xfeffffff
	v_lshlrev_b32_e32 v28, 2, v14
	s_mov_b32 s19, 0x3f200000
	s_mov_b32 s24, 0x3fb8aa3b
	;; [unrolled: 1-line block ×4, first 2 shown]
	v_mov_b32_e32 v29, 0xbd5c1c4e
	v_mov_b32_e32 v30, 0x3e088382
	;; [unrolled: 1-line block ×3, first 2 shown]
	s_brev_b32 s27, -2
	s_mov_b32 s34, 0x10001
	v_lshlrev_b32_e32 v32, 2, v20
	v_mov_b32_e32 v33, 0x7f800000
	v_mbcnt_hi_u32_b32 v20, -1, v11
	v_mov_b32_e32 v35, 0
	v_mov_b32_e32 v36, 0
.LBB23_16:                              ; =>This Inner Loop Header: Depth=1
	s_mul_hi_i32 s9, s6, s18
	s_mul_i32 s8, s6, s18
	s_lshl_b64 s[8:9], s[8:9], 2
	s_add_u32 s8, s10, s8
	s_addc_u32 s9, s11, s9
	v_mov_b32_e32 v1, s9
	v_add_co_u32_e32 v11, vcc, s8, v3
	v_addc_co_u32_e32 v1, vcc, v1, v4, vcc
	v_add_co_u32_e32 v11, vcc, v11, v28
	v_addc_co_u32_e32 v12, vcc, 0, v1, vcc
	v_mov_b32_e32 v1, s9
	v_add_co_u32_e32 v13, vcc, s8, v5
	v_addc_co_u32_e32 v1, vcc, v1, v6, vcc
	v_add_co_u32_e32 v13, vcc, v13, v28
	v_addc_co_u32_e32 v14, vcc, 0, v1, vcc
	global_load_dwordx4 v[38:41], v[11:12], off
	global_load_dwordx4 v[42:45], v[13:14], off
	v_mov_b32_e32 v1, 0
	s_waitcnt vmcnt(1)
	ds_write_b128 v21, v[38:41]
	s_waitcnt vmcnt(0)
	ds_write_b128 v22, v[42:45]
	s_waitcnt lgkmcnt(0)
	s_barrier
	ds_read_b128 v[39:42], v23
	ds_read_b128 v[43:46], v19
	v_mov_b32_e32 v38, 0
	ds_read_b128 v[47:50], v23 offset:4608
	s_waitcnt lgkmcnt(1)
	;;#ASMSTART
	v_dot2_f32_f16 v38, v39, v43, v38
	;;#ASMEND
	;;#ASMSTART
	v_dot2_f32_f16 v38, v40, v44, v38
	;;#ASMEND
	;;#ASMSTART
	v_dot2_f32_f16 v38, v41, v45, v38
	;;#ASMEND
	;;#ASMSTART
	v_dot2_f32_f16 v38, v42, v46, v38
	;;#ASMEND
	s_waitcnt lgkmcnt(0)
	;;#ASMSTART
	v_dot2_f32_f16 v1, v47, v43, v1
	;;#ASMEND
	;;#ASMSTART
	v_dot2_f32_f16 v1, v48, v44, v1
	;;#ASMEND
	;;#ASMSTART
	v_dot2_f32_f16 v1, v49, v45, v1
	;;#ASMEND
	;;#ASMSTART
	v_dot2_f32_f16 v1, v50, v46, v1
	;;#ASMEND
	ds_read_b128 v[39:42], v23 offset:16
	ds_read_b128 v[43:46], v19 offset:16
	ds_read_b128 v[47:50], v23 offset:4624
	s_waitcnt lgkmcnt(1)
	;;#ASMSTART
	v_dot2_f32_f16 v38, v39, v43, v38
	;;#ASMEND
	;;#ASMSTART
	v_dot2_f32_f16 v38, v40, v44, v38
	;;#ASMEND
	;;#ASMSTART
	v_dot2_f32_f16 v38, v41, v45, v38
	;;#ASMEND
	;;#ASMSTART
	v_dot2_f32_f16 v38, v42, v46, v38
	;;#ASMEND
	s_waitcnt lgkmcnt(0)
	;;#ASMSTART
	v_dot2_f32_f16 v1, v47, v43, v1
	;;#ASMEND
	;;#ASMSTART
	v_dot2_f32_f16 v1, v48, v44, v1
	;;#ASMEND
	;;#ASMSTART
	v_dot2_f32_f16 v1, v49, v45, v1
	;;#ASMEND
	;;#ASMSTART
	v_dot2_f32_f16 v1, v50, v46, v1
	;;#ASMEND
	ds_read_b128 v[39:42], v23 offset:32
	ds_read_b128 v[43:46], v19 offset:32
	;; [unrolled: 29-line block ×7, first 2 shown]
	ds_read_b128 v[47:50], v23 offset:4720
	s_waitcnt lgkmcnt(1)
	;;#ASMSTART
	v_dot2_f32_f16 v38, v39, v43, v38
	;;#ASMEND
	;;#ASMSTART
	v_dot2_f32_f16 v38, v40, v44, v38
	;;#ASMEND
	;; [unrolled: 3-line block ×4, first 2 shown]
	s_waitcnt lgkmcnt(0)
	;;#ASMSTART
	v_dot2_f32_f16 v1, v47, v43, v1
	;;#ASMEND
	;;#ASMSTART
	v_dot2_f32_f16 v1, v48, v44, v1
	;;#ASMEND
	;; [unrolled: 3-line block ×4, first 2 shown]
	s_barrier
	global_load_dwordx4 v[39:42], v[11:12], off offset:128
	global_load_dwordx4 v[43:46], v[13:14], off offset:128
	s_waitcnt vmcnt(1)
	ds_write_b128 v21, v[39:42]
	s_waitcnt vmcnt(0)
	ds_write_b128 v22, v[43:46]
	s_waitcnt lgkmcnt(0)
	s_barrier
	ds_read_b128 v[39:42], v23
	ds_read_b128 v[43:46], v19 offset:128
	ds_read_b128 v[47:50], v23 offset:4608
	s_waitcnt lgkmcnt(1)
	;;#ASMSTART
	v_dot2_f32_f16 v38, v39, v43, v38
	;;#ASMEND
	;;#ASMSTART
	v_dot2_f32_f16 v38, v40, v44, v38
	;;#ASMEND
	;;#ASMSTART
	v_dot2_f32_f16 v38, v41, v45, v38
	;;#ASMEND
	;;#ASMSTART
	v_dot2_f32_f16 v38, v42, v46, v38
	;;#ASMEND
	s_waitcnt lgkmcnt(0)
	;;#ASMSTART
	v_dot2_f32_f16 v1, v47, v43, v1
	;;#ASMEND
	;;#ASMSTART
	v_dot2_f32_f16 v1, v48, v44, v1
	;;#ASMEND
	;;#ASMSTART
	v_dot2_f32_f16 v1, v49, v45, v1
	;;#ASMEND
	;;#ASMSTART
	v_dot2_f32_f16 v1, v50, v46, v1
	;;#ASMEND
	ds_read_b128 v[39:42], v23 offset:16
	ds_read_b128 v[43:46], v19 offset:144
	ds_read_b128 v[47:50], v23 offset:4624
	s_waitcnt lgkmcnt(1)
	;;#ASMSTART
	v_dot2_f32_f16 v38, v39, v43, v38
	;;#ASMEND
	;;#ASMSTART
	v_dot2_f32_f16 v38, v40, v44, v38
	;;#ASMEND
	;;#ASMSTART
	v_dot2_f32_f16 v38, v41, v45, v38
	;;#ASMEND
	;;#ASMSTART
	v_dot2_f32_f16 v38, v42, v46, v38
	;;#ASMEND
	s_waitcnt lgkmcnt(0)
	;;#ASMSTART
	v_dot2_f32_f16 v1, v47, v43, v1
	;;#ASMEND
	;;#ASMSTART
	v_dot2_f32_f16 v1, v48, v44, v1
	;;#ASMEND
	;;#ASMSTART
	v_dot2_f32_f16 v1, v49, v45, v1
	;;#ASMEND
	;;#ASMSTART
	v_dot2_f32_f16 v1, v50, v46, v1
	;;#ASMEND
	ds_read_b128 v[39:42], v23 offset:32
	;; [unrolled: 29-line block ×7, first 2 shown]
	ds_read_b128 v[43:46], v19 offset:240
	ds_read_b128 v[47:50], v23 offset:4720
	s_waitcnt lgkmcnt(1)
	;;#ASMSTART
	v_dot2_f32_f16 v38, v39, v43, v38
	;;#ASMEND
	;;#ASMSTART
	v_dot2_f32_f16 v38, v40, v44, v38
	;;#ASMEND
	;; [unrolled: 3-line block ×4, first 2 shown]
	s_waitcnt lgkmcnt(0)
	;;#ASMSTART
	v_dot2_f32_f16 v1, v47, v43, v1
	;;#ASMEND
	;;#ASMSTART
	v_dot2_f32_f16 v1, v48, v44, v1
	;;#ASMEND
	;; [unrolled: 3-line block ×4, first 2 shown]
	s_barrier
	global_load_dwordx4 v[39:42], v[11:12], off offset:256
	global_load_dwordx4 v[43:46], v[13:14], off offset:256
	s_waitcnt vmcnt(1)
	ds_write_b128 v21, v[39:42]
	s_waitcnt vmcnt(0)
	ds_write_b128 v22, v[43:46]
	s_waitcnt lgkmcnt(0)
	s_barrier
	ds_read_b128 v[11:14], v23
	ds_read_b128 v[39:42], v19 offset:256
	ds_read_b128 v[43:46], v23 offset:4608
	s_waitcnt lgkmcnt(1)
	;;#ASMSTART
	v_dot2_f32_f16 v38, v11, v39, v38
	;;#ASMEND
	;;#ASMSTART
	v_dot2_f32_f16 v38, v12, v40, v38
	;;#ASMEND
	;;#ASMSTART
	v_dot2_f32_f16 v38, v13, v41, v38
	;;#ASMEND
	;;#ASMSTART
	v_dot2_f32_f16 v38, v14, v42, v38
	;;#ASMEND
	s_waitcnt lgkmcnt(0)
	;;#ASMSTART
	v_dot2_f32_f16 v1, v43, v39, v1
	;;#ASMEND
	;;#ASMSTART
	v_dot2_f32_f16 v1, v44, v40, v1
	;;#ASMEND
	;;#ASMSTART
	v_dot2_f32_f16 v1, v45, v41, v1
	;;#ASMEND
	;;#ASMSTART
	v_dot2_f32_f16 v1, v46, v42, v1
	;;#ASMEND
	ds_read_b128 v[11:14], v23 offset:16
	ds_read_b128 v[39:42], v19 offset:272
	ds_read_b128 v[43:46], v23 offset:4624
	s_waitcnt lgkmcnt(1)
	;;#ASMSTART
	v_dot2_f32_f16 v38, v11, v39, v38
	;;#ASMEND
	;;#ASMSTART
	v_dot2_f32_f16 v38, v12, v40, v38
	;;#ASMEND
	;;#ASMSTART
	v_dot2_f32_f16 v38, v13, v41, v38
	;;#ASMEND
	;;#ASMSTART
	v_dot2_f32_f16 v38, v14, v42, v38
	;;#ASMEND
	s_waitcnt lgkmcnt(0)
	;;#ASMSTART
	v_dot2_f32_f16 v1, v43, v39, v1
	;;#ASMEND
	;;#ASMSTART
	v_dot2_f32_f16 v1, v44, v40, v1
	;;#ASMEND
	;;#ASMSTART
	v_dot2_f32_f16 v1, v45, v41, v1
	;;#ASMEND
	;;#ASMSTART
	v_dot2_f32_f16 v1, v46, v42, v1
	;;#ASMEND
	ds_read_b128 v[11:14], v23 offset:32
	;; [unrolled: 29-line block ×7, first 2 shown]
	ds_read_b128 v[39:42], v19 offset:368
	ds_read_b128 v[43:46], v23 offset:4720
	s_waitcnt lgkmcnt(1)
	;;#ASMSTART
	v_dot2_f32_f16 v38, v11, v39, v38
	;;#ASMEND
	;;#ASMSTART
	v_dot2_f32_f16 v38, v12, v40, v38
	;;#ASMEND
	;; [unrolled: 3-line block ×4, first 2 shown]
	s_waitcnt lgkmcnt(0)
	;;#ASMSTART
	v_dot2_f32_f16 v1, v43, v39, v1
	;;#ASMEND
	;;#ASMSTART
	v_dot2_f32_f16 v1, v44, v40, v1
	;;#ASMEND
	;; [unrolled: 3-line block ×3, first 2 shown]
	v_cmp_nlt_f32_e64 s[8:9], |v38|, s19
	;;#ASMSTART
	v_dot2_f32_f16 v1, v46, v42, v1
	;;#ASMEND
                                        ; implicit-def: $vgpr13
	s_and_saveexec_b64 s[36:37], s[8:9]
	s_xor_b64 s[8:9], exec, s[36:37]
	s_cbranch_execz .LBB23_18
; %bb.17:                               ;   in Loop: Header=BB23_16 Depth=1
	v_add_f32_e64 v11, |v38|, |v38|
	v_mul_f32_e32 v12, 0x3fb8aa3b, v11
	v_rndne_f32_e32 v13, v12
	v_sub_f32_e32 v14, v12, v13
	v_fma_f32 v12, v11, s24, -v12
	v_fmac_f32_e32 v12, 0x32a5705f, v11
	v_add_f32_e32 v12, v14, v12
	v_cvt_i32_f32_e32 v13, v13
	v_exp_f32_e32 v12, v12
	v_cmp_ngt_f32_e32 vcc, s25, v11
	v_ldexp_f32 v12, v12, v13
	v_cndmask_b32_e32 v12, 0, v12, vcc
	v_cmp_nlt_f32_e32 vcc, s26, v11
	v_cndmask_b32_e32 v11, v33, v12, vcc
	v_add_f32_e32 v11, 1.0, v11
	v_rcp_f32_e32 v11, v11
	v_fma_f32 v13, v11, -2.0, 1.0
.LBB23_18:                              ;   in Loop: Header=BB23_16 Depth=1
	s_andn2_saveexec_b64 s[8:9], s[8:9]
; %bb.19:                               ;   in Loop: Header=BB23_16 Depth=1
	v_mul_f32_e32 v11, v38, v38
	v_mov_b32_e32 v12, 0x3ca908c9
	v_fmac_f32_e32 v12, 0xbbbac73d, v11
	v_fma_f32 v12, v11, v12, v29
	v_fma_f32 v12, v11, v12, v30
	;; [unrolled: 1-line block ×3, first 2 shown]
	v_mul_f32_e64 v12, |v38|, v12
	v_fma_f32 v13, v11, v12, |v38|
; %bb.20:                               ;   in Loop: Header=BB23_16 Depth=1
	s_or_b64 exec, exec, s[8:9]
	v_add_u32_e32 v11, s6, v2
	v_ashrrev_i32_e32 v12, 31, v11
	v_lshlrev_b64 v[11:12], 1, v[11:12]
	v_mov_b32_e32 v14, s31
	v_add_co_u32_e32 v11, vcc, s30, v11
	v_addc_co_u32_e32 v12, vcc, v14, v12, vcc
	global_load_ushort v14, v[11:12], off
	v_cmp_nlt_f32_e64 s[8:9], |v1|, s19
                                        ; implicit-def: $vgpr42
	s_and_saveexec_b64 s[36:37], s[8:9]
	s_xor_b64 s[8:9], exec, s[36:37]
	s_cbranch_execz .LBB23_22
; %bb.21:                               ;   in Loop: Header=BB23_16 Depth=1
	v_add_f32_e64 v39, |v1|, |v1|
	v_mul_f32_e32 v40, 0x3fb8aa3b, v39
	v_rndne_f32_e32 v41, v40
	v_sub_f32_e32 v42, v40, v41
	v_fma_f32 v40, v39, s24, -v40
	v_fmac_f32_e32 v40, 0x32a5705f, v39
	v_add_f32_e32 v40, v42, v40
	v_cvt_i32_f32_e32 v41, v41
	v_exp_f32_e32 v40, v40
	v_cmp_ngt_f32_e32 vcc, s25, v39
	v_ldexp_f32 v40, v40, v41
	v_cndmask_b32_e32 v40, 0, v40, vcc
	v_cmp_nlt_f32_e32 vcc, s26, v39
	v_cndmask_b32_e32 v39, v33, v40, vcc
	v_add_f32_e32 v39, 1.0, v39
	v_rcp_f32_e32 v39, v39
	v_fma_f32 v42, v39, -2.0, 1.0
.LBB23_22:                              ;   in Loop: Header=BB23_16 Depth=1
	s_andn2_saveexec_b64 s[8:9], s[8:9]
; %bb.23:                               ;   in Loop: Header=BB23_16 Depth=1
	v_mul_f32_e32 v39, v1, v1
	v_mov_b32_e32 v40, 0x3ca908c9
	v_fmac_f32_e32 v40, 0xbbbac73d, v39
	v_fma_f32 v40, v39, v40, v29
	v_fma_f32 v40, v39, v40, v30
	;; [unrolled: 1-line block ×3, first 2 shown]
	v_mul_f32_e64 v40, |v1|, v40
	v_fma_f32 v42, v39, v40, |v1|
; %bb.24:                               ;   in Loop: Header=BB23_16 Depth=1
	s_or_b64 exec, exec, s[8:9]
	global_load_ushort v11, v[11:12], off offset:64
	v_bfi_b32 v13, s27, v13, v38
	s_waitcnt vmcnt(1)
	v_fma_mix_f32 v43, s14, v13, v14 op_sel_hi:[0,0,1]
	v_and_b32_e32 v13, 0x60, v20
	v_xor_b32_e32 v14, 1, v20
	v_add_u32_e32 v13, 32, v13
	v_cmp_lt_i32_e32 vcc, v14, v13
	v_xor_b32_e32 v38, 2, v20
	v_cndmask_b32_e32 v45, v20, v14, vcc
	v_cmp_lt_i32_e32 vcc, v38, v13
	v_xor_b32_e32 v39, 4, v20
	v_cndmask_b32_e32 v46, v20, v38, vcc
	;; [unrolled: 3-line block ×3, first 2 shown]
	v_cmp_lt_i32_e32 vcc, v40, v13
	v_xor_b32_e32 v41, 16, v20
	v_bfi_b32 v1, s27, v42, v1
	v_cndmask_b32_e32 v48, v20, v40, vcc
	v_cmp_lt_i32_e32 vcc, v41, v13
	v_add_f32_e32 v44, 0x40051340, v43
	v_cndmask_b32_e32 v49, v20, v41, vcc
	v_lshlrev_b32_e32 v12, 2, v49
	v_lshlrev_b32_e32 v42, 2, v48
	;; [unrolled: 1-line block ×4, first 2 shown]
	s_mul_hi_i32 s9, s6, s15
	s_mul_i32 s8, s6, s15
	s_lshl_b64 s[8:9], s[8:9], 2
	s_add_u32 s8, s12, s8
	s_addc_u32 s9, s13, s9
	s_waitcnt vmcnt(0)
	s_barrier
	v_fma_mix_f32 v11, s14, v1, v11 op_sel_hi:[0,0,1]
	v_add_f32_e32 v1, 0x40051340, v11
	v_max3_f32 v1, v37, v44, v1
	ds_bpermute_b32 v12, v12, v1
	v_lshlrev_b32_e32 v44, 2, v47
	s_waitcnt lgkmcnt(0)
	v_max_f32_e32 v12, v12, v12
	v_max_f32_e32 v1, v1, v12
	ds_bpermute_b32 v12, v42, v1
	s_waitcnt lgkmcnt(0)
	v_max_f32_e32 v12, v12, v12
	v_max_f32_e32 v1, v1, v12
	ds_bpermute_b32 v12, v44, v1
	;; [unrolled: 4-line block ×4, first 2 shown]
	s_waitcnt lgkmcnt(0)
	v_max_f32_e32 v12, v12, v12
	v_max_f32_e32 v1, v1, v12
	v_sub_f32_e32 v12, v37, v1
	v_sub_f32_e32 v37, v43, v1
	v_mul_f32_e32 v42, 0x3fb8aa3b, v37
	v_fma_f32 v43, v37, s24, -v42
	v_rndne_f32_e32 v44, v42
	v_fmac_f32_e32 v43, 0x32a5705f, v37
	v_sub_f32_e32 v42, v42, v44
	v_add_f32_e32 v42, v42, v43
	v_exp_f32_e32 v42, v42
	v_cvt_i32_f32_e32 v43, v44
	v_sub_f32_e32 v11, v11, v1
	v_cmp_ngt_f32_e32 vcc, s25, v37
	v_ldexp_f32 v42, v42, v43
	v_mul_f32_e32 v43, 0x3fb8aa3b, v11
	v_fma_f32 v44, v11, s24, -v43
	v_rndne_f32_e32 v45, v43
	v_fmac_f32_e32 v44, 0x32a5705f, v11
	v_sub_f32_e32 v43, v43, v45
	v_add_f32_e32 v43, v43, v44
	v_exp_f32_e32 v43, v43
	v_cvt_i32_f32_e32 v44, v45
	v_cndmask_b32_e32 v42, 0, v42, vcc
	v_cmp_nlt_f32_e32 vcc, s26, v37
	v_cndmask_b32_e32 v37, v33, v42, vcc
	v_ldexp_f32 v43, v43, v44
	v_cmp_ngt_f32_e32 vcc, s25, v11
	v_cndmask_b32_e32 v43, 0, v43, vcc
	v_cmp_nlt_f32_e32 vcc, s26, v11
	v_cndmask_b32_e32 v43, v33, v43, vcc
	v_cvt_f16_f32_e32 v42, v37
	v_add_f32_e32 v11, v37, v43
	v_cvt_f16_f32_e32 v37, v43
	v_mul_f32_e32 v43, 0x3fb8aa3b, v12
	v_fma_f32 v44, v12, s24, -v43
	v_rndne_f32_e32 v45, v43
	v_fmac_f32_e32 v44, 0x32a5705f, v12
	v_sub_f32_e32 v43, v43, v45
	v_add_f32_e32 v43, v43, v44
	v_exp_f32_e32 v43, v43
	v_cvt_i32_f32_e32 v44, v45
	v_cmp_ngt_f32_e32 vcc, s25, v12
	ds_write_b16 v25, v42
	ds_write_b16 v25, v37 offset:64
	v_mov_b32_e32 v37, s9
	v_ldexp_f32 v43, v43, v44
	v_cndmask_b32_e32 v43, 0, v43, vcc
	v_cmp_nlt_f32_e32 vcc, s26, v12
	v_cndmask_b32_e32 v12, v33, v43, vcc
	v_fmac_f32_e32 v11, v36, v12
	v_add_co_u32_e32 v36, vcc, s8, v7
	v_addc_co_u32_e32 v37, vcc, v37, v8, vcc
	v_add_co_u32_e32 v36, vcc, v36, v32
	v_addc_co_u32_e32 v37, vcc, 0, v37, vcc
	global_load_dwordx4 v[42:45], v[36:37], off
	v_add_co_u32_e32 v36, vcc, s8, v9
	v_mov_b32_e32 v37, s9
	v_addc_co_u32_e32 v37, vcc, v37, v10, vcc
	v_add_co_u32_e32 v36, vcc, v36, v32
	v_addc_co_u32_e32 v37, vcc, 0, v37, vcc
	v_cvt_f16_f32_e32 v12, v12
	s_or_b32 s8, s6, 32
	s_mul_hi_i32 s9, s8, s15
	s_mul_i32 s8, s8, s15
	v_mul_u32_u24_e32 v12, 0x10001, v12
	s_lshl_b64 s[8:9], s[8:9], 2
	s_add_u32 s8, s12, s8
	s_addc_u32 s9, s13, s9
	s_waitcnt vmcnt(0)
	ds_write_b128 v26, v[42:45]
	global_load_dwordx4 v[42:45], v[36:37], off
	s_waitcnt vmcnt(0)
	ds_write_b128 v27, v[42:45]
	s_waitcnt lgkmcnt(0)
	s_barrier
	ds_read2_b64 v[42:45], v18 offset1:32
	ds_read_b128 v[46:49], v24
	ds_read_b128 v[50:53], v24 offset:16
	ds_read_b128 v[54:57], v24 offset:32
	;; [unrolled: 1-line block ×3, first 2 shown]
	s_waitcnt lgkmcnt(3)
	v_mul_u32_u24_sdwa v36, v46, s34 dst_sel:DWORD dst_unused:UNUSED_PAD src0_sel:WORD_0 src1_sel:DWORD
	v_pk_mul_f16 v37, v42, v36
	v_pk_mul_f16 v36, v43, v36
	v_pk_fma_f16 v34, v34, v12, v37
	v_pk_fma_f16 v12, v35, v12, v36
	v_mul_u32_u24_sdwa v35, v46, s34 dst_sel:DWORD dst_unused:UNUSED_PAD src0_sel:WORD_1 src1_sel:DWORD
	v_pk_fma_f16 v42, v44, v35, v34
	v_pk_fma_f16 v12, v45, v35, v12
	ds_read2_b64 v[34:37], v18 offset0:64 offset1:96
	v_mul_u32_u24_sdwa v43, v47, s34 dst_sel:DWORD dst_unused:UNUSED_PAD src0_sel:WORD_0 src1_sel:DWORD
	s_waitcnt lgkmcnt(3)
	v_mul_u32_u24_sdwa v44, v50, s34 dst_sel:DWORD dst_unused:UNUSED_PAD src0_sel:WORD_0 src1_sel:DWORD
	s_waitcnt lgkmcnt(0)
	v_pk_fma_f16 v34, v34, v43, v42
	v_pk_fma_f16 v12, v35, v43, v12
	v_mul_u32_u24_sdwa v35, v47, s34 dst_sel:DWORD dst_unused:UNUSED_PAD src0_sel:WORD_1 src1_sel:DWORD
	v_pk_fma_f16 v42, v36, v35, v34
	v_pk_fma_f16 v12, v37, v35, v12
	ds_read2_b64 v[34:37], v18 offset0:128 offset1:160
	v_mul_u32_u24_sdwa v43, v48, s34 dst_sel:DWORD dst_unused:UNUSED_PAD src0_sel:WORD_0 src1_sel:DWORD
	s_waitcnt lgkmcnt(0)
	v_pk_fma_f16 v34, v34, v43, v42
	v_pk_fma_f16 v12, v35, v43, v12
	v_mul_u32_u24_sdwa v35, v48, s34 dst_sel:DWORD dst_unused:UNUSED_PAD src0_sel:WORD_1 src1_sel:DWORD
	v_pk_fma_f16 v42, v36, v35, v34
	v_pk_fma_f16 v12, v37, v35, v12
	ds_read2_b64 v[34:37], v18 offset0:192 offset1:224
	v_mul_u32_u24_sdwa v43, v49, s34 dst_sel:DWORD dst_unused:UNUSED_PAD src0_sel:WORD_0 src1_sel:DWORD
	s_waitcnt lgkmcnt(0)
	v_pk_fma_f16 v12, v35, v43, v12
	v_mul_u32_u24_sdwa v35, v49, s34 dst_sel:DWORD dst_unused:UNUSED_PAD src0_sel:WORD_1 src1_sel:DWORD
	v_pk_fma_f16 v34, v34, v43, v42
	v_pk_fma_f16 v43, v37, v35, v12
	v_add_u32_e32 v12, 0x800, v18
	v_pk_fma_f16 v42, v36, v35, v34
	ds_read2_b64 v[34:37], v12 offset1:32
	s_waitcnt lgkmcnt(0)
	v_pk_fma_f16 v34, v34, v44, v42
	v_pk_fma_f16 v35, v35, v44, v43
	v_mul_u32_u24_sdwa v42, v50, s34 dst_sel:DWORD dst_unused:UNUSED_PAD src0_sel:WORD_1 src1_sel:DWORD
	v_pk_fma_f16 v43, v36, v42, v34
	v_pk_fma_f16 v42, v37, v42, v35
	ds_read2_b64 v[34:37], v12 offset0:64 offset1:96
	v_mul_u32_u24_sdwa v44, v51, s34 dst_sel:DWORD dst_unused:UNUSED_PAD src0_sel:WORD_0 src1_sel:DWORD
	s_waitcnt lgkmcnt(0)
	v_pk_fma_f16 v34, v34, v44, v43
	v_pk_fma_f16 v35, v35, v44, v42
	v_mul_u32_u24_sdwa v42, v51, s34 dst_sel:DWORD dst_unused:UNUSED_PAD src0_sel:WORD_1 src1_sel:DWORD
	v_pk_fma_f16 v43, v36, v42, v34
	v_pk_fma_f16 v42, v37, v42, v35
	ds_read2_b64 v[34:37], v12 offset0:128 offset1:160
	v_mul_u32_u24_sdwa v44, v52, s34 dst_sel:DWORD dst_unused:UNUSED_PAD src0_sel:WORD_0 src1_sel:DWORD
	;; [unrolled: 8-line block ×3, first 2 shown]
	s_waitcnt lgkmcnt(0)
	v_pk_fma_f16 v34, v34, v44, v43
	v_pk_fma_f16 v35, v35, v44, v42
	v_mul_u32_u24_sdwa v42, v53, s34 dst_sel:DWORD dst_unused:UNUSED_PAD src0_sel:WORD_1 src1_sel:DWORD
	v_pk_fma_f16 v34, v36, v42, v34
	v_pk_fma_f16 v36, v37, v42, v35
	v_add_u32_e32 v35, 0x1000, v18
	ds_read2_b64 v[42:45], v35 offset1:32
	v_mul_u32_u24_sdwa v37, v54, s34 dst_sel:DWORD dst_unused:UNUSED_PAD src0_sel:WORD_0 src1_sel:DWORD
	s_waitcnt lgkmcnt(0)
	v_pk_fma_f16 v34, v42, v37, v34
	v_pk_fma_f16 v36, v43, v37, v36
	v_mul_u32_u24_sdwa v37, v54, s34 dst_sel:DWORD dst_unused:UNUSED_PAD src0_sel:WORD_1 src1_sel:DWORD
	v_pk_fma_f16 v34, v44, v37, v34
	v_pk_fma_f16 v36, v45, v37, v36
	ds_read2_b64 v[42:45], v35 offset0:64 offset1:96
	v_mul_u32_u24_sdwa v37, v55, s34 dst_sel:DWORD dst_unused:UNUSED_PAD src0_sel:WORD_0 src1_sel:DWORD
	s_waitcnt lgkmcnt(0)
	v_pk_fma_f16 v34, v42, v37, v34
	v_pk_fma_f16 v36, v43, v37, v36
	v_mul_u32_u24_sdwa v37, v55, s34 dst_sel:DWORD dst_unused:UNUSED_PAD src0_sel:WORD_1 src1_sel:DWORD
	v_pk_fma_f16 v34, v44, v37, v34
	v_pk_fma_f16 v36, v45, v37, v36
	ds_read2_b64 v[42:45], v35 offset0:128 offset1:160
	;; [unrolled: 8-line block ×3, first 2 shown]
	v_mul_u32_u24_sdwa v37, v57, s34 dst_sel:DWORD dst_unused:UNUSED_PAD src0_sel:WORD_0 src1_sel:DWORD
	s_waitcnt lgkmcnt(0)
	v_pk_fma_f16 v34, v42, v37, v34
	v_pk_fma_f16 v36, v43, v37, v36
	v_mul_u32_u24_sdwa v37, v57, s34 dst_sel:DWORD dst_unused:UNUSED_PAD src0_sel:WORD_1 src1_sel:DWORD
	v_pk_fma_f16 v46, v44, v37, v34
	v_add_u32_e32 v34, 0x1800, v18
	v_pk_fma_f16 v36, v45, v37, v36
	ds_read2_b64 v[42:45], v34 offset1:32
	v_mul_u32_u24_sdwa v37, v58, s34 dst_sel:DWORD dst_unused:UNUSED_PAD src0_sel:WORD_0 src1_sel:DWORD
	s_waitcnt lgkmcnt(0)
	v_pk_fma_f16 v42, v42, v37, v46
	v_pk_fma_f16 v36, v43, v37, v36
	v_mul_u32_u24_sdwa v37, v58, s34 dst_sel:DWORD dst_unused:UNUSED_PAD src0_sel:WORD_1 src1_sel:DWORD
	v_pk_fma_f16 v46, v44, v37, v42
	v_pk_fma_f16 v36, v45, v37, v36
	ds_read2_b64 v[42:45], v34 offset0:64 offset1:96
	v_mul_u32_u24_sdwa v37, v59, s34 dst_sel:DWORD dst_unused:UNUSED_PAD src0_sel:WORD_0 src1_sel:DWORD
	s_waitcnt lgkmcnt(0)
	v_pk_fma_f16 v42, v42, v37, v46
	v_pk_fma_f16 v36, v43, v37, v36
	v_mul_u32_u24_sdwa v37, v59, s34 dst_sel:DWORD dst_unused:UNUSED_PAD src0_sel:WORD_1 src1_sel:DWORD
	v_pk_fma_f16 v46, v44, v37, v42
	v_pk_fma_f16 v36, v45, v37, v36
	ds_read2_b64 v[42:45], v34 offset0:128 offset1:160
	v_mul_u32_u24_sdwa v37, v60, s34 dst_sel:DWORD dst_unused:UNUSED_PAD src0_sel:WORD_0 src1_sel:DWORD
	s_waitcnt lgkmcnt(0)
	v_pk_fma_f16 v42, v42, v37, v46
	v_pk_fma_f16 v36, v43, v37, v36
	v_mul_u32_u24_sdwa v37, v60, s34 dst_sel:DWORD dst_unused:UNUSED_PAD src0_sel:WORD_1 src1_sel:DWORD
	v_pk_fma_f16 v46, v44, v37, v42
	v_pk_fma_f16 v36, v45, v37, v36
	ds_read2_b64 v[42:45], v34 offset0:192 offset1:224
	v_mul_u32_u24_sdwa v37, v61, s34 dst_sel:DWORD dst_unused:UNUSED_PAD src0_sel:WORD_0 src1_sel:DWORD
	s_waitcnt lgkmcnt(0)
	s_barrier
	v_pk_fma_f16 v42, v42, v37, v46
	v_pk_fma_f16 v36, v43, v37, v36
	v_mul_u32_u24_sdwa v37, v61, s34 dst_sel:DWORD dst_unused:UNUSED_PAD src0_sel:WORD_1 src1_sel:DWORD
	v_pk_fma_f16 v62, v44, v37, v42
	v_pk_fma_f16 v63, v45, v37, v36
	v_add_co_u32_e32 v36, vcc, s8, v7
	v_mov_b32_e32 v37, s9
	v_addc_co_u32_e32 v37, vcc, v37, v8, vcc
	v_add_co_u32_e32 v36, vcc, v36, v32
	v_addc_co_u32_e32 v37, vcc, 0, v37, vcc
	global_load_dwordx4 v[42:45], v[36:37], off
	v_add_co_u32_e32 v36, vcc, s8, v9
	v_mov_b32_e32 v37, s9
	v_addc_co_u32_e32 v37, vcc, v37, v10, vcc
	v_add_co_u32_e32 v36, vcc, v36, v32
	v_addc_co_u32_e32 v37, vcc, 0, v37, vcc
	s_waitcnt vmcnt(0)
	ds_write_b128 v26, v[42:45]
	global_load_dwordx4 v[42:45], v[36:37], off
	s_waitcnt vmcnt(0)
	ds_write_b128 v27, v[42:45]
	s_waitcnt lgkmcnt(0)
	s_barrier
	ds_read2_b64 v[42:45], v18 offset1:32
	ds_read_b128 v[46:49], v24 offset:64
	ds_read_b128 v[50:53], v24 offset:80
	;; [unrolled: 1-line block ×4, first 2 shown]
	s_waitcnt lgkmcnt(3)
	v_mul_u32_u24_sdwa v36, v46, s34 dst_sel:DWORD dst_unused:UNUSED_PAD src0_sel:WORD_0 src1_sel:DWORD
	v_pk_fma_f16 v37, v42, v36, v62
	v_pk_fma_f16 v36, v43, v36, v63
	v_mul_u32_u24_sdwa v42, v46, s34 dst_sel:DWORD dst_unused:UNUSED_PAD src0_sel:WORD_1 src1_sel:DWORD
	v_pk_fma_f16 v37, v44, v42, v37
	v_pk_fma_f16 v36, v45, v42, v36
	ds_read2_b64 v[42:45], v18 offset0:64 offset1:96
	v_mul_u32_u24_sdwa v46, v47, s34 dst_sel:DWORD dst_unused:UNUSED_PAD src0_sel:WORD_0 src1_sel:DWORD
	s_waitcnt lgkmcnt(0)
	v_pk_fma_f16 v37, v42, v46, v37
	v_pk_fma_f16 v36, v43, v46, v36
	v_mul_u32_u24_sdwa v42, v47, s34 dst_sel:DWORD dst_unused:UNUSED_PAD src0_sel:WORD_1 src1_sel:DWORD
	v_pk_fma_f16 v37, v44, v42, v37
	v_pk_fma_f16 v36, v45, v42, v36
	ds_read2_b64 v[42:45], v18 offset0:128 offset1:160
	v_mul_u32_u24_sdwa v46, v48, s34 dst_sel:DWORD dst_unused:UNUSED_PAD src0_sel:WORD_0 src1_sel:DWORD
	s_waitcnt lgkmcnt(0)
	v_pk_fma_f16 v37, v42, v46, v37
	v_pk_fma_f16 v36, v43, v46, v36
	v_mul_u32_u24_sdwa v42, v48, s34 dst_sel:DWORD dst_unused:UNUSED_PAD src0_sel:WORD_1 src1_sel:DWORD
	v_pk_fma_f16 v37, v44, v42, v37
	v_pk_fma_f16 v36, v45, v42, v36
	ds_read2_b64 v[42:45], v18 offset0:192 offset1:224
	v_mul_u32_u24_sdwa v46, v49, s34 dst_sel:DWORD dst_unused:UNUSED_PAD src0_sel:WORD_0 src1_sel:DWORD
	s_waitcnt lgkmcnt(0)
	v_pk_fma_f16 v37, v42, v46, v37
	v_pk_fma_f16 v36, v43, v46, v36
	v_mul_u32_u24_sdwa v42, v49, s34 dst_sel:DWORD dst_unused:UNUSED_PAD src0_sel:WORD_1 src1_sel:DWORD
	v_pk_fma_f16 v37, v44, v42, v37
	v_pk_fma_f16 v36, v45, v42, v36
	ds_read2_b64 v[42:45], v12 offset1:32
	v_mul_u32_u24_sdwa v46, v50, s34 dst_sel:DWORD dst_unused:UNUSED_PAD src0_sel:WORD_0 src1_sel:DWORD
	s_waitcnt lgkmcnt(0)
	v_pk_fma_f16 v37, v42, v46, v37
	v_pk_fma_f16 v36, v43, v46, v36
	v_mul_u32_u24_sdwa v42, v50, s34 dst_sel:DWORD dst_unused:UNUSED_PAD src0_sel:WORD_1 src1_sel:DWORD
	v_pk_fma_f16 v37, v44, v42, v37
	v_pk_fma_f16 v36, v45, v42, v36
	ds_read2_b64 v[42:45], v12 offset0:64 offset1:96
	v_mul_u32_u24_sdwa v46, v51, s34 dst_sel:DWORD dst_unused:UNUSED_PAD src0_sel:WORD_0 src1_sel:DWORD
	s_waitcnt lgkmcnt(0)
	v_pk_fma_f16 v37, v42, v46, v37
	v_pk_fma_f16 v36, v43, v46, v36
	v_mul_u32_u24_sdwa v42, v51, s34 dst_sel:DWORD dst_unused:UNUSED_PAD src0_sel:WORD_1 src1_sel:DWORD
	v_pk_fma_f16 v37, v44, v42, v37
	v_pk_fma_f16 v36, v45, v42, v36
	ds_read2_b64 v[42:45], v12 offset0:128 offset1:160
	v_mul_u32_u24_sdwa v46, v52, s34 dst_sel:DWORD dst_unused:UNUSED_PAD src0_sel:WORD_0 src1_sel:DWORD
	s_waitcnt lgkmcnt(0)
	v_pk_fma_f16 v37, v42, v46, v37
	v_pk_fma_f16 v36, v43, v46, v36
	v_mul_u32_u24_sdwa v42, v52, s34 dst_sel:DWORD dst_unused:UNUSED_PAD src0_sel:WORD_1 src1_sel:DWORD
	v_pk_fma_f16 v37, v44, v42, v37
	v_pk_fma_f16 v36, v45, v42, v36
	ds_read2_b64 v[42:45], v12 offset0:192 offset1:224
	v_mul_u32_u24_sdwa v12, v53, s34 dst_sel:DWORD dst_unused:UNUSED_PAD src0_sel:WORD_0 src1_sel:DWORD
	s_waitcnt lgkmcnt(0)
	v_pk_fma_f16 v37, v42, v12, v37
	v_pk_fma_f16 v12, v43, v12, v36
	v_mul_u32_u24_sdwa v36, v53, s34 dst_sel:DWORD dst_unused:UNUSED_PAD src0_sel:WORD_1 src1_sel:DWORD
	v_pk_fma_f16 v37, v44, v36, v37
	v_pk_fma_f16 v12, v45, v36, v12
	ds_read2_b64 v[42:45], v35 offset1:32
	v_mul_u32_u24_sdwa v36, v54, s34 dst_sel:DWORD dst_unused:UNUSED_PAD src0_sel:WORD_0 src1_sel:DWORD
	s_waitcnt lgkmcnt(0)
	;; [unrolled: 32-line block ×3, first 2 shown]
	v_pk_fma_f16 v36, v42, v35, v36
	v_pk_fma_f16 v12, v43, v35, v12
	v_mul_u32_u24_sdwa v35, v58, s34 dst_sel:DWORD dst_unused:UNUSED_PAD src0_sel:WORD_1 src1_sel:DWORD
	v_pk_fma_f16 v36, v44, v35, v36
	v_pk_fma_f16 v12, v45, v35, v12
	ds_read2_b64 v[42:45], v34 offset0:64 offset1:96
	v_mul_u32_u24_sdwa v35, v59, s34 dst_sel:DWORD dst_unused:UNUSED_PAD src0_sel:WORD_0 src1_sel:DWORD
	s_waitcnt lgkmcnt(0)
	v_pk_fma_f16 v36, v42, v35, v36
	v_pk_fma_f16 v12, v43, v35, v12
	v_mul_u32_u24_sdwa v35, v59, s34 dst_sel:DWORD dst_unused:UNUSED_PAD src0_sel:WORD_1 src1_sel:DWORD
	v_pk_fma_f16 v36, v44, v35, v36
	v_pk_fma_f16 v12, v45, v35, v12
	ds_read2_b64 v[42:45], v34 offset0:128 offset1:160
	v_mul_u32_u24_sdwa v35, v60, s34 dst_sel:DWORD dst_unused:UNUSED_PAD src0_sel:WORD_0 src1_sel:DWORD
	s_waitcnt lgkmcnt(0)
	v_pk_fma_f16 v36, v42, v35, v36
	v_pk_fma_f16 v12, v43, v35, v12
	v_mul_u32_u24_sdwa v35, v60, s34 dst_sel:DWORD dst_unused:UNUSED_PAD src0_sel:WORD_1 src1_sel:DWORD
	v_pk_fma_f16 v42, v44, v35, v36
	v_pk_fma_f16 v12, v45, v35, v12
	ds_read2_b64 v[34:37], v34 offset0:192 offset1:224
	s_waitcnt lgkmcnt(0)
	s_barrier
	s_load_dword s8, s[0:1], 0x4
	v_mul_u32_u24_sdwa v43, v61, s34 dst_sel:DWORD dst_unused:UNUSED_PAD src0_sel:WORD_0 src1_sel:DWORD
	v_pk_fma_f16 v34, v34, v43, v42
	v_pk_fma_f16 v12, v35, v43, v12
	v_mul_u32_u24_sdwa v35, v61, s34 dst_sel:DWORD dst_unused:UNUSED_PAD src0_sel:WORD_1 src1_sel:DWORD
	s_waitcnt lgkmcnt(0)
	s_lshl_b32 s8, s8, 6
	s_add_i32 s6, s8, s6
	v_pk_fma_f16 v34, v36, v35, v34
	v_pk_fma_f16 v35, v37, v35, v12
	s_cmp_ge_i32 s6, s28
	s_cbranch_scc1 .LBB23_9
; %bb.25:                               ;   in Loop: Header=BB23_16 Depth=1
	v_mov_b32_e32 v37, v1
	v_mov_b32_e32 v36, v11
	s_branch .LBB23_16
	.section	.rodata,"a",@progbits
	.p2align	6, 0x0
	.amdhsa_kernel _ZL15flash_attn_tileILi192ELi128ELi1ELi8ELb1EEvPKcS1_S1_S1_S1_PKiPfP15HIP_vector_typeIfLj2EEffffjfiS5_IjLj3EEiiiiiiiiiiiliiliiiiil
		.amdhsa_group_segment_fixed_size 13312
		.amdhsa_private_segment_fixed_size 0
		.amdhsa_kernarg_size 464
		.amdhsa_user_sgpr_count 6
		.amdhsa_user_sgpr_private_segment_buffer 1
		.amdhsa_user_sgpr_dispatch_ptr 0
		.amdhsa_user_sgpr_queue_ptr 0
		.amdhsa_user_sgpr_kernarg_segment_ptr 1
		.amdhsa_user_sgpr_dispatch_id 0
		.amdhsa_user_sgpr_flat_scratch_init 0
		.amdhsa_user_sgpr_private_segment_size 0
		.amdhsa_uses_dynamic_stack 0
		.amdhsa_system_sgpr_private_segment_wavefront_offset 0
		.amdhsa_system_sgpr_workgroup_id_x 1
		.amdhsa_system_sgpr_workgroup_id_y 1
		.amdhsa_system_sgpr_workgroup_id_z 1
		.amdhsa_system_sgpr_workgroup_info 0
		.amdhsa_system_vgpr_workitem_id 1
		.amdhsa_next_free_vgpr 64
		.amdhsa_next_free_sgpr 98
		.amdhsa_reserve_vcc 1
		.amdhsa_reserve_flat_scratch 0
		.amdhsa_float_round_mode_32 0
		.amdhsa_float_round_mode_16_64 0
		.amdhsa_float_denorm_mode_32 3
		.amdhsa_float_denorm_mode_16_64 3
		.amdhsa_dx10_clamp 1
		.amdhsa_ieee_mode 1
		.amdhsa_fp16_overflow 0
		.amdhsa_exception_fp_ieee_invalid_op 0
		.amdhsa_exception_fp_denorm_src 0
		.amdhsa_exception_fp_ieee_div_zero 0
		.amdhsa_exception_fp_ieee_overflow 0
		.amdhsa_exception_fp_ieee_underflow 0
		.amdhsa_exception_fp_ieee_inexact 0
		.amdhsa_exception_int_div_zero 0
	.end_amdhsa_kernel
	.section	.text._ZL15flash_attn_tileILi192ELi128ELi1ELi8ELb1EEvPKcS1_S1_S1_S1_PKiPfP15HIP_vector_typeIfLj2EEffffjfiS5_IjLj3EEiiiiiiiiiiiliiliiiiil,"axG",@progbits,_ZL15flash_attn_tileILi192ELi128ELi1ELi8ELb1EEvPKcS1_S1_S1_S1_PKiPfP15HIP_vector_typeIfLj2EEffffjfiS5_IjLj3EEiiiiiiiiiiiliiliiiiil,comdat
.Lfunc_end23:
	.size	_ZL15flash_attn_tileILi192ELi128ELi1ELi8ELb1EEvPKcS1_S1_S1_S1_PKiPfP15HIP_vector_typeIfLj2EEffffjfiS5_IjLj3EEiiiiiiiiiiiliiliiiiil, .Lfunc_end23-_ZL15flash_attn_tileILi192ELi128ELi1ELi8ELb1EEvPKcS1_S1_S1_S1_PKiPfP15HIP_vector_typeIfLj2EEffffjfiS5_IjLj3EEiiiiiiiiiiiliiliiiiil
                                        ; -- End function
	.set _ZL15flash_attn_tileILi192ELi128ELi1ELi8ELb1EEvPKcS1_S1_S1_S1_PKiPfP15HIP_vector_typeIfLj2EEffffjfiS5_IjLj3EEiiiiiiiiiiiliiliiiiil.num_vgpr, 64
	.set _ZL15flash_attn_tileILi192ELi128ELi1ELi8ELb1EEvPKcS1_S1_S1_S1_PKiPfP15HIP_vector_typeIfLj2EEffffjfiS5_IjLj3EEiiiiiiiiiiiliiliiiiil.num_agpr, 0
	.set _ZL15flash_attn_tileILi192ELi128ELi1ELi8ELb1EEvPKcS1_S1_S1_S1_PKiPfP15HIP_vector_typeIfLj2EEffffjfiS5_IjLj3EEiiiiiiiiiiiliiliiiiil.numbered_sgpr, 40
	.set _ZL15flash_attn_tileILi192ELi128ELi1ELi8ELb1EEvPKcS1_S1_S1_S1_PKiPfP15HIP_vector_typeIfLj2EEffffjfiS5_IjLj3EEiiiiiiiiiiiliiliiiiil.num_named_barrier, 0
	.set _ZL15flash_attn_tileILi192ELi128ELi1ELi8ELb1EEvPKcS1_S1_S1_S1_PKiPfP15HIP_vector_typeIfLj2EEffffjfiS5_IjLj3EEiiiiiiiiiiiliiliiiiil.private_seg_size, 0
	.set _ZL15flash_attn_tileILi192ELi128ELi1ELi8ELb1EEvPKcS1_S1_S1_S1_PKiPfP15HIP_vector_typeIfLj2EEffffjfiS5_IjLj3EEiiiiiiiiiiiliiliiiiil.uses_vcc, 1
	.set _ZL15flash_attn_tileILi192ELi128ELi1ELi8ELb1EEvPKcS1_S1_S1_S1_PKiPfP15HIP_vector_typeIfLj2EEffffjfiS5_IjLj3EEiiiiiiiiiiiliiliiiiil.uses_flat_scratch, 0
	.set _ZL15flash_attn_tileILi192ELi128ELi1ELi8ELb1EEvPKcS1_S1_S1_S1_PKiPfP15HIP_vector_typeIfLj2EEffffjfiS5_IjLj3EEiiiiiiiiiiiliiliiiiil.has_dyn_sized_stack, 0
	.set _ZL15flash_attn_tileILi192ELi128ELi1ELi8ELb1EEvPKcS1_S1_S1_S1_PKiPfP15HIP_vector_typeIfLj2EEffffjfiS5_IjLj3EEiiiiiiiiiiiliiliiiiil.has_recursion, 0
	.set _ZL15flash_attn_tileILi192ELi128ELi1ELi8ELb1EEvPKcS1_S1_S1_S1_PKiPfP15HIP_vector_typeIfLj2EEffffjfiS5_IjLj3EEiiiiiiiiiiiliiliiiiil.has_indirect_call, 0
	.section	.AMDGPU.csdata,"",@progbits
; Kernel info:
; codeLenInByte = 8048
; TotalNumSgprs: 44
; NumVgprs: 64
; ScratchSize: 0
; MemoryBound: 0
; FloatMode: 240
; IeeeMode: 1
; LDSByteSize: 13312 bytes/workgroup (compile time only)
; SGPRBlocks: 12
; VGPRBlocks: 15
; NumSGPRsForWavesPerEU: 102
; NumVGPRsForWavesPerEU: 64
; Occupancy: 4
; WaveLimiterHint : 1
; COMPUTE_PGM_RSRC2:SCRATCH_EN: 0
; COMPUTE_PGM_RSRC2:USER_SGPR: 6
; COMPUTE_PGM_RSRC2:TRAP_HANDLER: 0
; COMPUTE_PGM_RSRC2:TGID_X_EN: 1
; COMPUTE_PGM_RSRC2:TGID_Y_EN: 1
; COMPUTE_PGM_RSRC2:TGID_Z_EN: 1
; COMPUTE_PGM_RSRC2:TIDIG_COMP_CNT: 1
	.section	.AMDGPU.gpr_maximums,"",@progbits
	.set amdgpu.max_num_vgpr, 0
	.set amdgpu.max_num_agpr, 0
	.set amdgpu.max_num_sgpr, 0
	.section	.AMDGPU.csdata,"",@progbits
	.type	__hip_cuid_27c9bef887b4183,@object ; @__hip_cuid_27c9bef887b4183
	.section	.bss,"aw",@nobits
	.globl	__hip_cuid_27c9bef887b4183
__hip_cuid_27c9bef887b4183:
	.byte	0                               ; 0x0
	.size	__hip_cuid_27c9bef887b4183, 1

	.ident	"AMD clang version 22.0.0git (https://github.com/RadeonOpenCompute/llvm-project roc-7.2.4 26084 f58b06dce1f9c15707c5f808fd002e18c2accf7e)"
	.section	".note.GNU-stack","",@progbits
	.addrsig
	.addrsig_sym __hip_cuid_27c9bef887b4183
	.amdgpu_metadata
---
amdhsa.kernels:
  - .args:
      - .address_space:  global
        .offset:         0
        .size:           8
        .value_kind:     global_buffer
      - .address_space:  global
        .offset:         8
        .size:           8
        .value_kind:     global_buffer
      - .address_space:  global
        .offset:         16
        .size:           8
        .value_kind:     global_buffer
      - .address_space:  global
        .offset:         24
        .size:           8
        .value_kind:     global_buffer
      - .address_space:  global
        .offset:         32
        .size:           8
        .value_kind:     global_buffer
      - .address_space:  global
        .offset:         40
        .size:           8
        .value_kind:     global_buffer
      - .address_space:  global
        .offset:         48
        .size:           8
        .value_kind:     global_buffer
      - .address_space:  global
        .offset:         56
        .size:           8
        .value_kind:     global_buffer
      - .offset:         64
        .size:           4
        .value_kind:     by_value
      - .offset:         68
        .size:           4
        .value_kind:     by_value
      - .offset:         72
        .size:           4
        .value_kind:     by_value
      - .offset:         76
        .size:           4
        .value_kind:     by_value
      - .offset:         80
        .size:           4
        .value_kind:     by_value
      - .offset:         84
        .size:           4
        .value_kind:     by_value
      - .offset:         88
        .size:           4
        .value_kind:     by_value
      - .offset:         92
        .size:           12
        .value_kind:     by_value
      - .offset:         104
        .size:           4
        .value_kind:     by_value
      - .offset:         108
        .size:           4
        .value_kind:     by_value
      - .offset:         112
        .size:           4
        .value_kind:     by_value
      - .offset:         116
        .size:           4
        .value_kind:     by_value
      - .offset:         120
        .size:           4
        .value_kind:     by_value
      - .offset:         124
        .size:           4
        .value_kind:     by_value
      - .offset:         128
        .size:           4
        .value_kind:     by_value
      - .offset:         132
        .size:           4
        .value_kind:     by_value
      - .offset:         136
        .size:           4
        .value_kind:     by_value
      - .offset:         140
        .size:           4
        .value_kind:     by_value
      - .offset:         144
        .size:           4
        .value_kind:     by_value
      - .offset:         152
        .size:           8
        .value_kind:     by_value
      - .offset:         160
        .size:           4
        .value_kind:     by_value
      - .offset:         164
        .size:           4
        .value_kind:     by_value
      - .offset:         168
        .size:           8
        .value_kind:     by_value
      - .offset:         176
        .size:           4
        .value_kind:     by_value
      - .offset:         180
        .size:           4
        .value_kind:     by_value
      - .offset:         184
        .size:           4
        .value_kind:     by_value
      - .offset:         188
        .size:           4
        .value_kind:     by_value
      - .offset:         192
        .size:           4
        .value_kind:     by_value
      - .offset:         200
        .size:           8
        .value_kind:     by_value
      - .offset:         208
        .size:           4
        .value_kind:     hidden_block_count_x
      - .offset:         212
        .size:           4
        .value_kind:     hidden_block_count_y
      - .offset:         216
        .size:           4
        .value_kind:     hidden_block_count_z
      - .offset:         220
        .size:           2
        .value_kind:     hidden_group_size_x
      - .offset:         222
        .size:           2
        .value_kind:     hidden_group_size_y
      - .offset:         224
        .size:           2
        .value_kind:     hidden_group_size_z
      - .offset:         226
        .size:           2
        .value_kind:     hidden_remainder_x
      - .offset:         228
        .size:           2
        .value_kind:     hidden_remainder_y
      - .offset:         230
        .size:           2
        .value_kind:     hidden_remainder_z
      - .offset:         248
        .size:           8
        .value_kind:     hidden_global_offset_x
      - .offset:         256
        .size:           8
        .value_kind:     hidden_global_offset_y
      - .offset:         264
        .size:           8
        .value_kind:     hidden_global_offset_z
      - .offset:         272
        .size:           2
        .value_kind:     hidden_grid_dims
    .group_segment_fixed_size: 18944
    .kernarg_segment_align: 8
    .kernarg_segment_size: 464
    .language:       OpenCL C
    .language_version:
      - 2
      - 0
    .max_flat_workgroup_size: 256
    .name:           _ZL15flash_attn_tileILi192ELi128ELi2ELi16ELb0EEvPKcS1_S1_S1_S1_PKiPfP15HIP_vector_typeIfLj2EEffffjfiS5_IjLj3EEiiiiiiiiiiiliiliiiiil
    .private_segment_fixed_size: 0
    .sgpr_count:     44
    .sgpr_spill_count: 0
    .symbol:         _ZL15flash_attn_tileILi192ELi128ELi2ELi16ELb0EEvPKcS1_S1_S1_S1_PKiPfP15HIP_vector_typeIfLj2EEffffjfiS5_IjLj3EEiiiiiiiiiiiliiliiiiil.kd
    .uniform_work_group_size: 1
    .uses_dynamic_stack: false
    .vgpr_count:     68
    .vgpr_spill_count: 0
    .wavefront_size: 64
  - .args:
      - .actual_access:  read_only
        .address_space:  global
        .offset:         0
        .size:           8
        .value_kind:     global_buffer
      - .actual_access:  write_only
        .address_space:  global
        .offset:         8
        .size:           8
        .value_kind:     global_buffer
      - .offset:         16
        .size:           4
        .value_kind:     by_value
      - .offset:         20
        .size:           4
        .value_kind:     by_value
      - .offset:         24
        .size:           4
        .value_kind:     by_value
      - .offset:         32
        .size:           4
        .value_kind:     hidden_block_count_x
      - .offset:         36
        .size:           4
        .value_kind:     hidden_block_count_y
      - .offset:         40
        .size:           4
        .value_kind:     hidden_block_count_z
      - .offset:         44
        .size:           2
        .value_kind:     hidden_group_size_x
      - .offset:         46
        .size:           2
        .value_kind:     hidden_group_size_y
      - .offset:         48
        .size:           2
        .value_kind:     hidden_group_size_z
      - .offset:         50
        .size:           2
        .value_kind:     hidden_remainder_x
      - .offset:         52
        .size:           2
        .value_kind:     hidden_remainder_y
      - .offset:         54
        .size:           2
        .value_kind:     hidden_remainder_z
      - .offset:         72
        .size:           8
        .value_kind:     hidden_global_offset_x
      - .offset:         80
        .size:           8
        .value_kind:     hidden_global_offset_y
      - .offset:         88
        .size:           8
        .value_kind:     hidden_global_offset_z
      - .offset:         96
        .size:           2
        .value_kind:     hidden_grid_dims
    .group_segment_fixed_size: 128
    .kernarg_segment_align: 8
    .kernarg_segment_size: 288
    .language:       OpenCL C
    .language_version:
      - 2
      - 0
    .max_flat_workgroup_size: 128
    .name:           _ZL25flash_attn_mask_to_KV_maxILi2EEvPK7__half2Piiii
    .private_segment_fixed_size: 0
    .sgpr_count:     26
    .sgpr_spill_count: 0
    .symbol:         _ZL25flash_attn_mask_to_KV_maxILi2EEvPK7__half2Piiii.kd
    .uniform_work_group_size: 1
    .uses_dynamic_stack: false
    .vgpr_count:     17
    .vgpr_spill_count: 0
    .wavefront_size: 64
  - .args:
      - .address_space:  global
        .offset:         0
        .size:           8
        .value_kind:     global_buffer
      - .address_space:  global
        .offset:         8
        .size:           8
        .value_kind:     global_buffer
      - .offset:         16
        .size:           4
        .value_kind:     by_value
      - .offset:         20
        .size:           4
        .value_kind:     by_value
      - .offset:         24
        .size:           4
        .value_kind:     by_value
      - .offset:         28
        .size:           4
        .value_kind:     by_value
      - .offset:         32
        .size:           4
        .value_kind:     by_value
      - .offset:         36
        .size:           4
        .value_kind:     by_value
      - .offset:         40
        .size:           12
        .value_kind:     by_value
      - .offset:         52
        .size:           12
        .value_kind:     by_value
      - .offset:         64
        .size:           12
        .value_kind:     by_value
    .group_segment_fixed_size: 0
    .kernarg_segment_align: 8
    .kernarg_segment_size: 76
    .language:       OpenCL C
    .language_version:
      - 2
      - 0
    .max_flat_workgroup_size: 128
    .name:           _ZL33flash_attn_stream_k_fixup_uniformILi128ELi2ELi16EEvPfPK15HIP_vector_typeIfLj2EEiiiiiiS1_IjLj3EES5_S5_
    .private_segment_fixed_size: 0
    .sgpr_count:     24
    .sgpr_spill_count: 0
    .symbol:         _ZL33flash_attn_stream_k_fixup_uniformILi128ELi2ELi16EEvPfPK15HIP_vector_typeIfLj2EEiiiiiiS1_IjLj3EES5_S5_.kd
    .uniform_work_group_size: 1
    .uses_dynamic_stack: false
    .vgpr_count:     17
    .vgpr_spill_count: 0
    .wavefront_size: 64
  - .args:
      - .address_space:  global
        .offset:         0
        .size:           8
        .value_kind:     global_buffer
      - .address_space:  global
        .offset:         8
        .size:           8
        .value_kind:     global_buffer
      - .offset:         16
        .size:           4
        .value_kind:     by_value
      - .offset:         20
        .size:           4
        .value_kind:     by_value
      - .offset:         24
        .size:           4
        .value_kind:     by_value
      - .offset:         28
        .size:           4
        .value_kind:     by_value
      - .offset:         32
        .size:           12
        .value_kind:     by_value
      - .offset:         44
        .size:           12
        .value_kind:     by_value
      - .offset:         56
        .size:           12
        .value_kind:     by_value
      - .offset:         68
        .size:           12
        .value_kind:     by_value
      - .offset:         80
        .size:           4
        .value_kind:     hidden_block_count_x
      - .offset:         84
        .size:           4
        .value_kind:     hidden_block_count_y
      - .offset:         88
        .size:           4
        .value_kind:     hidden_block_count_z
      - .offset:         92
        .size:           2
        .value_kind:     hidden_group_size_x
      - .offset:         94
        .size:           2
        .value_kind:     hidden_group_size_y
      - .offset:         96
        .size:           2
        .value_kind:     hidden_group_size_z
      - .offset:         98
        .size:           2
        .value_kind:     hidden_remainder_x
      - .offset:         100
        .size:           2
        .value_kind:     hidden_remainder_y
      - .offset:         102
        .size:           2
        .value_kind:     hidden_remainder_z
      - .offset:         120
        .size:           8
        .value_kind:     hidden_global_offset_x
      - .offset:         128
        .size:           8
        .value_kind:     hidden_global_offset_y
      - .offset:         136
        .size:           8
        .value_kind:     hidden_global_offset_z
      - .offset:         144
        .size:           2
        .value_kind:     hidden_grid_dims
    .group_segment_fixed_size: 0
    .kernarg_segment_align: 8
    .kernarg_segment_size: 336
    .language:       OpenCL C
    .language_version:
      - 2
      - 0
    .max_flat_workgroup_size: 128
    .name:           _ZL33flash_attn_stream_k_fixup_generalILi128ELi2ELi16EEvPfPK15HIP_vector_typeIfLj2EEiiiiS1_IjLj3EES5_S5_S5_
    .private_segment_fixed_size: 0
    .sgpr_count:     40
    .sgpr_spill_count: 0
    .symbol:         _ZL33flash_attn_stream_k_fixup_generalILi128ELi2ELi16EEvPfPK15HIP_vector_typeIfLj2EEiiiiS1_IjLj3EES5_S5_S5_.kd
    .uniform_work_group_size: 1
    .uses_dynamic_stack: false
    .vgpr_count:     18
    .vgpr_spill_count: 0
    .wavefront_size: 64
  - .args:
      - .address_space:  global
        .offset:         0
        .size:           8
        .value_kind:     global_buffer
      - .address_space:  global
        .offset:         8
        .size:           8
        .value_kind:     global_buffer
      - .address_space:  global
        .offset:         16
        .size:           8
        .value_kind:     global_buffer
      - .offset:         24
        .size:           4
        .value_kind:     by_value
      - .offset:         32
        .size:           4
        .value_kind:     hidden_block_count_x
      - .offset:         36
        .size:           4
        .value_kind:     hidden_block_count_y
      - .offset:         40
        .size:           4
        .value_kind:     hidden_block_count_z
      - .offset:         44
        .size:           2
        .value_kind:     hidden_group_size_x
      - .offset:         46
        .size:           2
        .value_kind:     hidden_group_size_y
      - .offset:         48
        .size:           2
        .value_kind:     hidden_group_size_z
      - .offset:         50
        .size:           2
        .value_kind:     hidden_remainder_x
      - .offset:         52
        .size:           2
        .value_kind:     hidden_remainder_y
      - .offset:         54
        .size:           2
        .value_kind:     hidden_remainder_z
      - .offset:         72
        .size:           8
        .value_kind:     hidden_global_offset_x
      - .offset:         80
        .size:           8
        .value_kind:     hidden_global_offset_y
      - .offset:         88
        .size:           8
        .value_kind:     hidden_global_offset_z
      - .offset:         96
        .size:           2
        .value_kind:     hidden_grid_dims
      - .offset:         152
        .size:           4
        .value_kind:     hidden_dynamic_lds_size
    .group_segment_fixed_size: 0
    .kernarg_segment_align: 8
    .kernarg_segment_size: 288
    .language:       OpenCL C
    .language_version:
      - 2
      - 0
    .max_flat_workgroup_size: 128
    .name:           _ZL26flash_attn_combine_resultsILi128EEvPKfPK15HIP_vector_typeIfLj2EEPfi
    .private_segment_fixed_size: 0
    .sgpr_count:     20
    .sgpr_spill_count: 0
    .symbol:         _ZL26flash_attn_combine_resultsILi128EEvPKfPK15HIP_vector_typeIfLj2EEPfi.kd
    .uniform_work_group_size: 1
    .uses_dynamic_stack: false
    .vgpr_count:     17
    .vgpr_spill_count: 0
    .wavefront_size: 64
  - .args:
      - .address_space:  global
        .offset:         0
        .size:           8
        .value_kind:     global_buffer
      - .address_space:  global
        .offset:         8
        .size:           8
        .value_kind:     global_buffer
      - .address_space:  global
        .offset:         16
        .size:           8
        .value_kind:     global_buffer
      - .address_space:  global
        .offset:         24
        .size:           8
        .value_kind:     global_buffer
      - .address_space:  global
        .offset:         32
        .size:           8
        .value_kind:     global_buffer
      - .address_space:  global
        .offset:         40
        .size:           8
        .value_kind:     global_buffer
      - .address_space:  global
        .offset:         48
        .size:           8
        .value_kind:     global_buffer
      - .address_space:  global
        .offset:         56
        .size:           8
        .value_kind:     global_buffer
      - .offset:         64
        .size:           4
        .value_kind:     by_value
      - .offset:         68
        .size:           4
        .value_kind:     by_value
      - .offset:         72
        .size:           4
        .value_kind:     by_value
      - .offset:         76
        .size:           4
        .value_kind:     by_value
      - .offset:         80
        .size:           4
        .value_kind:     by_value
      - .offset:         84
        .size:           4
        .value_kind:     by_value
      - .offset:         88
        .size:           4
        .value_kind:     by_value
      - .offset:         92
        .size:           12
        .value_kind:     by_value
      - .offset:         104
        .size:           4
        .value_kind:     by_value
      - .offset:         108
        .size:           4
        .value_kind:     by_value
      - .offset:         112
        .size:           4
        .value_kind:     by_value
      - .offset:         116
        .size:           4
        .value_kind:     by_value
      - .offset:         120
        .size:           4
        .value_kind:     by_value
      - .offset:         124
        .size:           4
        .value_kind:     by_value
      - .offset:         128
        .size:           4
        .value_kind:     by_value
      - .offset:         132
        .size:           4
        .value_kind:     by_value
      - .offset:         136
        .size:           4
        .value_kind:     by_value
      - .offset:         140
        .size:           4
        .value_kind:     by_value
      - .offset:         144
        .size:           4
        .value_kind:     by_value
      - .offset:         152
        .size:           8
        .value_kind:     by_value
      - .offset:         160
        .size:           4
        .value_kind:     by_value
      - .offset:         164
        .size:           4
        .value_kind:     by_value
      - .offset:         168
        .size:           8
        .value_kind:     by_value
      - .offset:         176
        .size:           4
        .value_kind:     by_value
      - .offset:         180
        .size:           4
        .value_kind:     by_value
      - .offset:         184
        .size:           4
        .value_kind:     by_value
      - .offset:         188
        .size:           4
        .value_kind:     by_value
      - .offset:         192
        .size:           4
        .value_kind:     by_value
      - .offset:         200
        .size:           8
        .value_kind:     by_value
      - .offset:         208
        .size:           4
        .value_kind:     hidden_block_count_x
      - .offset:         212
        .size:           4
        .value_kind:     hidden_block_count_y
      - .offset:         216
        .size:           4
        .value_kind:     hidden_block_count_z
      - .offset:         220
        .size:           2
        .value_kind:     hidden_group_size_x
      - .offset:         222
        .size:           2
        .value_kind:     hidden_group_size_y
      - .offset:         224
        .size:           2
        .value_kind:     hidden_group_size_z
      - .offset:         226
        .size:           2
        .value_kind:     hidden_remainder_x
      - .offset:         228
        .size:           2
        .value_kind:     hidden_remainder_y
      - .offset:         230
        .size:           2
        .value_kind:     hidden_remainder_z
      - .offset:         248
        .size:           8
        .value_kind:     hidden_global_offset_x
      - .offset:         256
        .size:           8
        .value_kind:     hidden_global_offset_y
      - .offset:         264
        .size:           8
        .value_kind:     hidden_global_offset_z
      - .offset:         272
        .size:           2
        .value_kind:     hidden_grid_dims
    .group_segment_fixed_size: 11776
    .kernarg_segment_align: 8
    .kernarg_segment_size: 464
    .language:       OpenCL C
    .language_version:
      - 2
      - 0
    .max_flat_workgroup_size: 256
    .name:           _ZL15flash_attn_tileILi192ELi128ELi1ELi16ELb0EEvPKcS1_S1_S1_S1_PKiPfP15HIP_vector_typeIfLj2EEffffjfiS5_IjLj3EEiiiiiiiiiiiliiliiiiil
    .private_segment_fixed_size: 0
    .sgpr_count:     48
    .sgpr_spill_count: 0
    .symbol:         _ZL15flash_attn_tileILi192ELi128ELi1ELi16ELb0EEvPKcS1_S1_S1_S1_PKiPfP15HIP_vector_typeIfLj2EEffffjfiS5_IjLj3EEiiiiiiiiiiiliiliiiiil.kd
    .uniform_work_group_size: 1
    .uses_dynamic_stack: false
    .vgpr_count:     50
    .vgpr_spill_count: 0
    .wavefront_size: 64
  - .args:
      - .actual_access:  read_only
        .address_space:  global
        .offset:         0
        .size:           8
        .value_kind:     global_buffer
      - .actual_access:  write_only
        .address_space:  global
        .offset:         8
        .size:           8
        .value_kind:     global_buffer
      - .offset:         16
        .size:           4
        .value_kind:     by_value
      - .offset:         20
        .size:           4
        .value_kind:     by_value
      - .offset:         24
        .size:           4
        .value_kind:     by_value
      - .offset:         32
        .size:           4
        .value_kind:     hidden_block_count_x
      - .offset:         36
        .size:           4
        .value_kind:     hidden_block_count_y
      - .offset:         40
        .size:           4
        .value_kind:     hidden_block_count_z
      - .offset:         44
        .size:           2
        .value_kind:     hidden_group_size_x
      - .offset:         46
        .size:           2
        .value_kind:     hidden_group_size_y
      - .offset:         48
        .size:           2
        .value_kind:     hidden_group_size_z
      - .offset:         50
        .size:           2
        .value_kind:     hidden_remainder_x
      - .offset:         52
        .size:           2
        .value_kind:     hidden_remainder_y
      - .offset:         54
        .size:           2
        .value_kind:     hidden_remainder_z
      - .offset:         72
        .size:           8
        .value_kind:     hidden_global_offset_x
      - .offset:         80
        .size:           8
        .value_kind:     hidden_global_offset_y
      - .offset:         88
        .size:           8
        .value_kind:     hidden_global_offset_z
      - .offset:         96
        .size:           2
        .value_kind:     hidden_grid_dims
    .group_segment_fixed_size: 128
    .kernarg_segment_align: 8
    .kernarg_segment_size: 288
    .language:       OpenCL C
    .language_version:
      - 2
      - 0
    .max_flat_workgroup_size: 128
    .name:           _ZL25flash_attn_mask_to_KV_maxILi1EEvPK7__half2Piiii
    .private_segment_fixed_size: 0
    .sgpr_count:     22
    .sgpr_spill_count: 0
    .symbol:         _ZL25flash_attn_mask_to_KV_maxILi1EEvPK7__half2Piiii.kd
    .uniform_work_group_size: 1
    .uses_dynamic_stack: false
    .vgpr_count:     17
    .vgpr_spill_count: 0
    .wavefront_size: 64
  - .args:
      - .address_space:  global
        .offset:         0
        .size:           8
        .value_kind:     global_buffer
      - .address_space:  global
        .offset:         8
        .size:           8
        .value_kind:     global_buffer
      - .offset:         16
        .size:           4
        .value_kind:     by_value
      - .offset:         20
        .size:           4
        .value_kind:     by_value
      - .offset:         24
        .size:           4
        .value_kind:     by_value
      - .offset:         28
        .size:           4
        .value_kind:     by_value
      - .offset:         32
        .size:           4
        .value_kind:     by_value
      - .offset:         36
        .size:           4
        .value_kind:     by_value
      - .offset:         40
        .size:           12
        .value_kind:     by_value
      - .offset:         52
        .size:           12
        .value_kind:     by_value
      - .offset:         64
        .size:           12
        .value_kind:     by_value
    .group_segment_fixed_size: 0
    .kernarg_segment_align: 8
    .kernarg_segment_size: 76
    .language:       OpenCL C
    .language_version:
      - 2
      - 0
    .max_flat_workgroup_size: 128
    .name:           _ZL33flash_attn_stream_k_fixup_uniformILi128ELi1ELi16EEvPfPK15HIP_vector_typeIfLj2EEiiiiiiS1_IjLj3EES5_S5_
    .private_segment_fixed_size: 0
    .sgpr_count:     24
    .sgpr_spill_count: 0
    .symbol:         _ZL33flash_attn_stream_k_fixup_uniformILi128ELi1ELi16EEvPfPK15HIP_vector_typeIfLj2EEiiiiiiS1_IjLj3EES5_S5_.kd
    .uniform_work_group_size: 1
    .uses_dynamic_stack: false
    .vgpr_count:     17
    .vgpr_spill_count: 0
    .wavefront_size: 64
  - .args:
      - .address_space:  global
        .offset:         0
        .size:           8
        .value_kind:     global_buffer
      - .address_space:  global
        .offset:         8
        .size:           8
        .value_kind:     global_buffer
      - .offset:         16
        .size:           4
        .value_kind:     by_value
      - .offset:         20
        .size:           4
        .value_kind:     by_value
      - .offset:         24
        .size:           4
        .value_kind:     by_value
      - .offset:         28
        .size:           4
        .value_kind:     by_value
      - .offset:         32
        .size:           12
        .value_kind:     by_value
      - .offset:         44
        .size:           12
        .value_kind:     by_value
      - .offset:         56
        .size:           12
        .value_kind:     by_value
      - .offset:         68
        .size:           12
        .value_kind:     by_value
      - .offset:         80
        .size:           4
        .value_kind:     hidden_block_count_x
      - .offset:         84
        .size:           4
        .value_kind:     hidden_block_count_y
      - .offset:         88
        .size:           4
        .value_kind:     hidden_block_count_z
      - .offset:         92
        .size:           2
        .value_kind:     hidden_group_size_x
      - .offset:         94
        .size:           2
        .value_kind:     hidden_group_size_y
      - .offset:         96
        .size:           2
        .value_kind:     hidden_group_size_z
      - .offset:         98
        .size:           2
        .value_kind:     hidden_remainder_x
      - .offset:         100
        .size:           2
        .value_kind:     hidden_remainder_y
      - .offset:         102
        .size:           2
        .value_kind:     hidden_remainder_z
      - .offset:         120
        .size:           8
        .value_kind:     hidden_global_offset_x
      - .offset:         128
        .size:           8
        .value_kind:     hidden_global_offset_y
      - .offset:         136
        .size:           8
        .value_kind:     hidden_global_offset_z
      - .offset:         144
        .size:           2
        .value_kind:     hidden_grid_dims
    .group_segment_fixed_size: 0
    .kernarg_segment_align: 8
    .kernarg_segment_size: 336
    .language:       OpenCL C
    .language_version:
      - 2
      - 0
    .max_flat_workgroup_size: 128
    .name:           _ZL33flash_attn_stream_k_fixup_generalILi128ELi1ELi16EEvPfPK15HIP_vector_typeIfLj2EEiiiiS1_IjLj3EES5_S5_S5_
    .private_segment_fixed_size: 0
    .sgpr_count:     41
    .sgpr_spill_count: 0
    .symbol:         _ZL33flash_attn_stream_k_fixup_generalILi128ELi1ELi16EEvPfPK15HIP_vector_typeIfLj2EEiiiiS1_IjLj3EES5_S5_S5_.kd
    .uniform_work_group_size: 1
    .uses_dynamic_stack: false
    .vgpr_count:     18
    .vgpr_spill_count: 0
    .wavefront_size: 64
  - .args:
      - .address_space:  global
        .offset:         0
        .size:           8
        .value_kind:     global_buffer
      - .address_space:  global
        .offset:         8
        .size:           8
        .value_kind:     global_buffer
      - .address_space:  global
        .offset:         16
        .size:           8
        .value_kind:     global_buffer
      - .address_space:  global
        .offset:         24
        .size:           8
        .value_kind:     global_buffer
      - .address_space:  global
        .offset:         32
        .size:           8
        .value_kind:     global_buffer
      - .address_space:  global
        .offset:         40
        .size:           8
        .value_kind:     global_buffer
      - .address_space:  global
        .offset:         48
        .size:           8
        .value_kind:     global_buffer
      - .address_space:  global
        .offset:         56
        .size:           8
        .value_kind:     global_buffer
      - .offset:         64
        .size:           4
        .value_kind:     by_value
      - .offset:         68
        .size:           4
        .value_kind:     by_value
      - .offset:         72
        .size:           4
        .value_kind:     by_value
      - .offset:         76
        .size:           4
        .value_kind:     by_value
      - .offset:         80
        .size:           4
        .value_kind:     by_value
      - .offset:         84
        .size:           4
        .value_kind:     by_value
      - .offset:         88
        .size:           4
        .value_kind:     by_value
      - .offset:         92
        .size:           12
        .value_kind:     by_value
      - .offset:         104
        .size:           4
        .value_kind:     by_value
      - .offset:         108
        .size:           4
        .value_kind:     by_value
      - .offset:         112
        .size:           4
        .value_kind:     by_value
      - .offset:         116
        .size:           4
        .value_kind:     by_value
      - .offset:         120
        .size:           4
        .value_kind:     by_value
      - .offset:         124
        .size:           4
        .value_kind:     by_value
      - .offset:         128
        .size:           4
        .value_kind:     by_value
      - .offset:         132
        .size:           4
        .value_kind:     by_value
      - .offset:         136
        .size:           4
        .value_kind:     by_value
      - .offset:         140
        .size:           4
        .value_kind:     by_value
      - .offset:         144
        .size:           4
        .value_kind:     by_value
      - .offset:         152
        .size:           8
        .value_kind:     by_value
      - .offset:         160
        .size:           4
        .value_kind:     by_value
      - .offset:         164
        .size:           4
        .value_kind:     by_value
      - .offset:         168
        .size:           8
        .value_kind:     by_value
      - .offset:         176
        .size:           4
        .value_kind:     by_value
      - .offset:         180
        .size:           4
        .value_kind:     by_value
      - .offset:         184
        .size:           4
        .value_kind:     by_value
      - .offset:         188
        .size:           4
        .value_kind:     by_value
      - .offset:         192
        .size:           4
        .value_kind:     by_value
      - .offset:         200
        .size:           8
        .value_kind:     by_value
      - .offset:         208
        .size:           4
        .value_kind:     hidden_block_count_x
      - .offset:         212
        .size:           4
        .value_kind:     hidden_block_count_y
      - .offset:         216
        .size:           4
        .value_kind:     hidden_block_count_z
      - .offset:         220
        .size:           2
        .value_kind:     hidden_group_size_x
      - .offset:         222
        .size:           2
        .value_kind:     hidden_group_size_y
      - .offset:         224
        .size:           2
        .value_kind:     hidden_group_size_z
      - .offset:         226
        .size:           2
        .value_kind:     hidden_remainder_x
      - .offset:         228
        .size:           2
        .value_kind:     hidden_remainder_y
      - .offset:         230
        .size:           2
        .value_kind:     hidden_remainder_z
      - .offset:         248
        .size:           8
        .value_kind:     hidden_global_offset_x
      - .offset:         256
        .size:           8
        .value_kind:     hidden_global_offset_y
      - .offset:         264
        .size:           8
        .value_kind:     hidden_global_offset_z
      - .offset:         272
        .size:           2
        .value_kind:     hidden_grid_dims
    .group_segment_fixed_size: 18944
    .kernarg_segment_align: 8
    .kernarg_segment_size: 464
    .language:       OpenCL C
    .language_version:
      - 2
      - 0
    .max_flat_workgroup_size: 256
    .name:           _ZL15flash_attn_tileILi192ELi128ELi4ELi8ELb0EEvPKcS1_S1_S1_S1_PKiPfP15HIP_vector_typeIfLj2EEffffjfiS5_IjLj3EEiiiiiiiiiiiliiliiiiil
    .private_segment_fixed_size: 0
    .sgpr_count:     44
    .sgpr_spill_count: 0
    .symbol:         _ZL15flash_attn_tileILi192ELi128ELi4ELi8ELb0EEvPKcS1_S1_S1_S1_PKiPfP15HIP_vector_typeIfLj2EEffffjfiS5_IjLj3EEiiiiiiiiiiiliiliiiiil.kd
    .uniform_work_group_size: 1
    .uses_dynamic_stack: false
    .vgpr_count:     68
    .vgpr_spill_count: 0
    .wavefront_size: 64
  - .args:
      - .actual_access:  read_only
        .address_space:  global
        .offset:         0
        .size:           8
        .value_kind:     global_buffer
      - .actual_access:  write_only
        .address_space:  global
        .offset:         8
        .size:           8
        .value_kind:     global_buffer
      - .offset:         16
        .size:           4
        .value_kind:     by_value
      - .offset:         20
        .size:           4
        .value_kind:     by_value
      - .offset:         24
        .size:           4
        .value_kind:     by_value
      - .offset:         32
        .size:           4
        .value_kind:     hidden_block_count_x
      - .offset:         36
        .size:           4
        .value_kind:     hidden_block_count_y
      - .offset:         40
        .size:           4
        .value_kind:     hidden_block_count_z
      - .offset:         44
        .size:           2
        .value_kind:     hidden_group_size_x
      - .offset:         46
        .size:           2
        .value_kind:     hidden_group_size_y
      - .offset:         48
        .size:           2
        .value_kind:     hidden_group_size_z
      - .offset:         50
        .size:           2
        .value_kind:     hidden_remainder_x
      - .offset:         52
        .size:           2
        .value_kind:     hidden_remainder_y
      - .offset:         54
        .size:           2
        .value_kind:     hidden_remainder_z
      - .offset:         72
        .size:           8
        .value_kind:     hidden_global_offset_x
      - .offset:         80
        .size:           8
        .value_kind:     hidden_global_offset_y
      - .offset:         88
        .size:           8
        .value_kind:     hidden_global_offset_z
      - .offset:         96
        .size:           2
        .value_kind:     hidden_grid_dims
    .group_segment_fixed_size: 128
    .kernarg_segment_align: 8
    .kernarg_segment_size: 288
    .language:       OpenCL C
    .language_version:
      - 2
      - 0
    .max_flat_workgroup_size: 128
    .name:           _ZL25flash_attn_mask_to_KV_maxILi4EEvPK7__half2Piiii
    .private_segment_fixed_size: 0
    .sgpr_count:     34
    .sgpr_spill_count: 0
    .symbol:         _ZL25flash_attn_mask_to_KV_maxILi4EEvPK7__half2Piiii.kd
    .uniform_work_group_size: 1
    .uses_dynamic_stack: false
    .vgpr_count:     12
    .vgpr_spill_count: 0
    .wavefront_size: 64
  - .args:
      - .address_space:  global
        .offset:         0
        .size:           8
        .value_kind:     global_buffer
      - .address_space:  global
        .offset:         8
        .size:           8
        .value_kind:     global_buffer
      - .offset:         16
        .size:           4
        .value_kind:     by_value
      - .offset:         20
        .size:           4
        .value_kind:     by_value
      - .offset:         24
        .size:           4
        .value_kind:     by_value
      - .offset:         28
        .size:           4
        .value_kind:     by_value
      - .offset:         32
        .size:           4
        .value_kind:     by_value
      - .offset:         36
        .size:           4
        .value_kind:     by_value
      - .offset:         40
        .size:           12
        .value_kind:     by_value
      - .offset:         52
        .size:           12
        .value_kind:     by_value
      - .offset:         64
        .size:           12
        .value_kind:     by_value
    .group_segment_fixed_size: 0
    .kernarg_segment_align: 8
    .kernarg_segment_size: 76
    .language:       OpenCL C
    .language_version:
      - 2
      - 0
    .max_flat_workgroup_size: 128
    .name:           _ZL33flash_attn_stream_k_fixup_uniformILi128ELi4ELi8EEvPfPK15HIP_vector_typeIfLj2EEiiiiiiS1_IjLj3EES5_S5_
    .private_segment_fixed_size: 0
    .sgpr_count:     24
    .sgpr_spill_count: 0
    .symbol:         _ZL33flash_attn_stream_k_fixup_uniformILi128ELi4ELi8EEvPfPK15HIP_vector_typeIfLj2EEiiiiiiS1_IjLj3EES5_S5_.kd
    .uniform_work_group_size: 1
    .uses_dynamic_stack: false
    .vgpr_count:     17
    .vgpr_spill_count: 0
    .wavefront_size: 64
  - .args:
      - .address_space:  global
        .offset:         0
        .size:           8
        .value_kind:     global_buffer
      - .address_space:  global
        .offset:         8
        .size:           8
        .value_kind:     global_buffer
      - .offset:         16
        .size:           4
        .value_kind:     by_value
      - .offset:         20
        .size:           4
        .value_kind:     by_value
      - .offset:         24
        .size:           4
        .value_kind:     by_value
      - .offset:         28
        .size:           4
        .value_kind:     by_value
      - .offset:         32
        .size:           12
        .value_kind:     by_value
      - .offset:         44
        .size:           12
        .value_kind:     by_value
      - .offset:         56
        .size:           12
        .value_kind:     by_value
      - .offset:         68
        .size:           12
        .value_kind:     by_value
      - .offset:         80
        .size:           4
        .value_kind:     hidden_block_count_x
      - .offset:         84
        .size:           4
        .value_kind:     hidden_block_count_y
      - .offset:         88
        .size:           4
        .value_kind:     hidden_block_count_z
      - .offset:         92
        .size:           2
        .value_kind:     hidden_group_size_x
      - .offset:         94
        .size:           2
        .value_kind:     hidden_group_size_y
      - .offset:         96
        .size:           2
        .value_kind:     hidden_group_size_z
      - .offset:         98
        .size:           2
        .value_kind:     hidden_remainder_x
      - .offset:         100
        .size:           2
        .value_kind:     hidden_remainder_y
      - .offset:         102
        .size:           2
        .value_kind:     hidden_remainder_z
      - .offset:         120
        .size:           8
        .value_kind:     hidden_global_offset_x
      - .offset:         128
        .size:           8
        .value_kind:     hidden_global_offset_y
      - .offset:         136
        .size:           8
        .value_kind:     hidden_global_offset_z
      - .offset:         144
        .size:           2
        .value_kind:     hidden_grid_dims
    .group_segment_fixed_size: 0
    .kernarg_segment_align: 8
    .kernarg_segment_size: 336
    .language:       OpenCL C
    .language_version:
      - 2
      - 0
    .max_flat_workgroup_size: 128
    .name:           _ZL33flash_attn_stream_k_fixup_generalILi128ELi4ELi8EEvPfPK15HIP_vector_typeIfLj2EEiiiiS1_IjLj3EES5_S5_S5_
    .private_segment_fixed_size: 0
    .sgpr_count:     40
    .sgpr_spill_count: 0
    .symbol:         _ZL33flash_attn_stream_k_fixup_generalILi128ELi4ELi8EEvPfPK15HIP_vector_typeIfLj2EEiiiiS1_IjLj3EES5_S5_S5_.kd
    .uniform_work_group_size: 1
    .uses_dynamic_stack: false
    .vgpr_count:     18
    .vgpr_spill_count: 0
    .wavefront_size: 64
  - .args:
      - .address_space:  global
        .offset:         0
        .size:           8
        .value_kind:     global_buffer
      - .address_space:  global
        .offset:         8
        .size:           8
        .value_kind:     global_buffer
      - .address_space:  global
        .offset:         16
        .size:           8
        .value_kind:     global_buffer
      - .address_space:  global
        .offset:         24
        .size:           8
        .value_kind:     global_buffer
      - .address_space:  global
        .offset:         32
        .size:           8
        .value_kind:     global_buffer
      - .address_space:  global
        .offset:         40
        .size:           8
        .value_kind:     global_buffer
      - .address_space:  global
        .offset:         48
        .size:           8
        .value_kind:     global_buffer
      - .address_space:  global
        .offset:         56
        .size:           8
        .value_kind:     global_buffer
      - .offset:         64
        .size:           4
        .value_kind:     by_value
      - .offset:         68
        .size:           4
        .value_kind:     by_value
      - .offset:         72
        .size:           4
        .value_kind:     by_value
      - .offset:         76
        .size:           4
        .value_kind:     by_value
      - .offset:         80
        .size:           4
        .value_kind:     by_value
      - .offset:         84
        .size:           4
        .value_kind:     by_value
      - .offset:         88
        .size:           4
        .value_kind:     by_value
      - .offset:         92
        .size:           12
        .value_kind:     by_value
      - .offset:         104
        .size:           4
        .value_kind:     by_value
      - .offset:         108
        .size:           4
        .value_kind:     by_value
      - .offset:         112
        .size:           4
        .value_kind:     by_value
      - .offset:         116
        .size:           4
        .value_kind:     by_value
      - .offset:         120
        .size:           4
        .value_kind:     by_value
      - .offset:         124
        .size:           4
        .value_kind:     by_value
      - .offset:         128
        .size:           4
        .value_kind:     by_value
      - .offset:         132
        .size:           4
        .value_kind:     by_value
      - .offset:         136
        .size:           4
        .value_kind:     by_value
      - .offset:         140
        .size:           4
        .value_kind:     by_value
      - .offset:         144
        .size:           4
        .value_kind:     by_value
      - .offset:         152
        .size:           8
        .value_kind:     by_value
      - .offset:         160
        .size:           4
        .value_kind:     by_value
      - .offset:         164
        .size:           4
        .value_kind:     by_value
      - .offset:         168
        .size:           8
        .value_kind:     by_value
      - .offset:         176
        .size:           4
        .value_kind:     by_value
      - .offset:         180
        .size:           4
        .value_kind:     by_value
      - .offset:         184
        .size:           4
        .value_kind:     by_value
      - .offset:         188
        .size:           4
        .value_kind:     by_value
      - .offset:         192
        .size:           4
        .value_kind:     by_value
      - .offset:         200
        .size:           8
        .value_kind:     by_value
      - .offset:         208
        .size:           4
        .value_kind:     hidden_block_count_x
      - .offset:         212
        .size:           4
        .value_kind:     hidden_block_count_y
      - .offset:         216
        .size:           4
        .value_kind:     hidden_block_count_z
      - .offset:         220
        .size:           2
        .value_kind:     hidden_group_size_x
      - .offset:         222
        .size:           2
        .value_kind:     hidden_group_size_y
      - .offset:         224
        .size:           2
        .value_kind:     hidden_group_size_z
      - .offset:         226
        .size:           2
        .value_kind:     hidden_remainder_x
      - .offset:         228
        .size:           2
        .value_kind:     hidden_remainder_y
      - .offset:         230
        .size:           2
        .value_kind:     hidden_remainder_z
      - .offset:         248
        .size:           8
        .value_kind:     hidden_global_offset_x
      - .offset:         256
        .size:           8
        .value_kind:     hidden_global_offset_y
      - .offset:         264
        .size:           8
        .value_kind:     hidden_global_offset_z
      - .offset:         272
        .size:           2
        .value_kind:     hidden_grid_dims
    .group_segment_fixed_size: 11776
    .kernarg_segment_align: 8
    .kernarg_segment_size: 464
    .language:       OpenCL C
    .language_version:
      - 2
      - 0
    .max_flat_workgroup_size: 256
    .name:           _ZL15flash_attn_tileILi192ELi128ELi2ELi8ELb0EEvPKcS1_S1_S1_S1_PKiPfP15HIP_vector_typeIfLj2EEffffjfiS5_IjLj3EEiiiiiiiiiiiliiliiiiil
    .private_segment_fixed_size: 0
    .sgpr_count:     48
    .sgpr_spill_count: 0
    .symbol:         _ZL15flash_attn_tileILi192ELi128ELi2ELi8ELb0EEvPKcS1_S1_S1_S1_PKiPfP15HIP_vector_typeIfLj2EEffffjfiS5_IjLj3EEiiiiiiiiiiiliiliiiiil.kd
    .uniform_work_group_size: 1
    .uses_dynamic_stack: false
    .vgpr_count:     50
    .vgpr_spill_count: 0
    .wavefront_size: 64
  - .args:
      - .address_space:  global
        .offset:         0
        .size:           8
        .value_kind:     global_buffer
      - .address_space:  global
        .offset:         8
        .size:           8
        .value_kind:     global_buffer
      - .offset:         16
        .size:           4
        .value_kind:     by_value
      - .offset:         20
        .size:           4
        .value_kind:     by_value
      - .offset:         24
        .size:           4
        .value_kind:     by_value
      - .offset:         28
        .size:           4
        .value_kind:     by_value
      - .offset:         32
        .size:           4
        .value_kind:     by_value
      - .offset:         36
        .size:           4
        .value_kind:     by_value
      - .offset:         40
        .size:           12
        .value_kind:     by_value
      - .offset:         52
        .size:           12
        .value_kind:     by_value
      - .offset:         64
        .size:           12
        .value_kind:     by_value
    .group_segment_fixed_size: 0
    .kernarg_segment_align: 8
    .kernarg_segment_size: 76
    .language:       OpenCL C
    .language_version:
      - 2
      - 0
    .max_flat_workgroup_size: 128
    .name:           _ZL33flash_attn_stream_k_fixup_uniformILi128ELi2ELi8EEvPfPK15HIP_vector_typeIfLj2EEiiiiiiS1_IjLj3EES5_S5_
    .private_segment_fixed_size: 0
    .sgpr_count:     24
    .sgpr_spill_count: 0
    .symbol:         _ZL33flash_attn_stream_k_fixup_uniformILi128ELi2ELi8EEvPfPK15HIP_vector_typeIfLj2EEiiiiiiS1_IjLj3EES5_S5_.kd
    .uniform_work_group_size: 1
    .uses_dynamic_stack: false
    .vgpr_count:     17
    .vgpr_spill_count: 0
    .wavefront_size: 64
  - .args:
      - .address_space:  global
        .offset:         0
        .size:           8
        .value_kind:     global_buffer
      - .address_space:  global
        .offset:         8
        .size:           8
        .value_kind:     global_buffer
      - .offset:         16
        .size:           4
        .value_kind:     by_value
      - .offset:         20
        .size:           4
        .value_kind:     by_value
      - .offset:         24
        .size:           4
        .value_kind:     by_value
      - .offset:         28
        .size:           4
        .value_kind:     by_value
      - .offset:         32
        .size:           12
        .value_kind:     by_value
      - .offset:         44
        .size:           12
        .value_kind:     by_value
      - .offset:         56
        .size:           12
        .value_kind:     by_value
      - .offset:         68
        .size:           12
        .value_kind:     by_value
      - .offset:         80
        .size:           4
        .value_kind:     hidden_block_count_x
      - .offset:         84
        .size:           4
        .value_kind:     hidden_block_count_y
      - .offset:         88
        .size:           4
        .value_kind:     hidden_block_count_z
      - .offset:         92
        .size:           2
        .value_kind:     hidden_group_size_x
      - .offset:         94
        .size:           2
        .value_kind:     hidden_group_size_y
      - .offset:         96
        .size:           2
        .value_kind:     hidden_group_size_z
      - .offset:         98
        .size:           2
        .value_kind:     hidden_remainder_x
      - .offset:         100
        .size:           2
        .value_kind:     hidden_remainder_y
      - .offset:         102
        .size:           2
        .value_kind:     hidden_remainder_z
      - .offset:         120
        .size:           8
        .value_kind:     hidden_global_offset_x
      - .offset:         128
        .size:           8
        .value_kind:     hidden_global_offset_y
      - .offset:         136
        .size:           8
        .value_kind:     hidden_global_offset_z
      - .offset:         144
        .size:           2
        .value_kind:     hidden_grid_dims
    .group_segment_fixed_size: 0
    .kernarg_segment_align: 8
    .kernarg_segment_size: 336
    .language:       OpenCL C
    .language_version:
      - 2
      - 0
    .max_flat_workgroup_size: 128
    .name:           _ZL33flash_attn_stream_k_fixup_generalILi128ELi2ELi8EEvPfPK15HIP_vector_typeIfLj2EEiiiiS1_IjLj3EES5_S5_S5_
    .private_segment_fixed_size: 0
    .sgpr_count:     40
    .sgpr_spill_count: 0
    .symbol:         _ZL33flash_attn_stream_k_fixup_generalILi128ELi2ELi8EEvPfPK15HIP_vector_typeIfLj2EEiiiiS1_IjLj3EES5_S5_S5_.kd
    .uniform_work_group_size: 1
    .uses_dynamic_stack: false
    .vgpr_count:     18
    .vgpr_spill_count: 0
    .wavefront_size: 64
  - .args:
      - .address_space:  global
        .offset:         0
        .size:           8
        .value_kind:     global_buffer
      - .address_space:  global
        .offset:         8
        .size:           8
        .value_kind:     global_buffer
      - .address_space:  global
        .offset:         16
        .size:           8
        .value_kind:     global_buffer
      - .address_space:  global
        .offset:         24
        .size:           8
        .value_kind:     global_buffer
      - .address_space:  global
        .offset:         32
        .size:           8
        .value_kind:     global_buffer
      - .address_space:  global
        .offset:         40
        .size:           8
        .value_kind:     global_buffer
      - .address_space:  global
        .offset:         48
        .size:           8
        .value_kind:     global_buffer
      - .address_space:  global
        .offset:         56
        .size:           8
        .value_kind:     global_buffer
      - .offset:         64
        .size:           4
        .value_kind:     by_value
      - .offset:         68
        .size:           4
        .value_kind:     by_value
      - .offset:         72
        .size:           4
        .value_kind:     by_value
      - .offset:         76
        .size:           4
        .value_kind:     by_value
      - .offset:         80
        .size:           4
        .value_kind:     by_value
      - .offset:         84
        .size:           4
        .value_kind:     by_value
      - .offset:         88
        .size:           4
        .value_kind:     by_value
      - .offset:         92
        .size:           12
        .value_kind:     by_value
      - .offset:         104
        .size:           4
        .value_kind:     by_value
      - .offset:         108
        .size:           4
        .value_kind:     by_value
      - .offset:         112
        .size:           4
        .value_kind:     by_value
      - .offset:         116
        .size:           4
        .value_kind:     by_value
      - .offset:         120
        .size:           4
        .value_kind:     by_value
      - .offset:         124
        .size:           4
        .value_kind:     by_value
      - .offset:         128
        .size:           4
        .value_kind:     by_value
      - .offset:         132
        .size:           4
        .value_kind:     by_value
      - .offset:         136
        .size:           4
        .value_kind:     by_value
      - .offset:         140
        .size:           4
        .value_kind:     by_value
      - .offset:         144
        .size:           4
        .value_kind:     by_value
      - .offset:         152
        .size:           8
        .value_kind:     by_value
      - .offset:         160
        .size:           4
        .value_kind:     by_value
      - .offset:         164
        .size:           4
        .value_kind:     by_value
      - .offset:         168
        .size:           8
        .value_kind:     by_value
      - .offset:         176
        .size:           4
        .value_kind:     by_value
      - .offset:         180
        .size:           4
        .value_kind:     by_value
      - .offset:         184
        .size:           4
        .value_kind:     by_value
      - .offset:         188
        .size:           4
        .value_kind:     by_value
      - .offset:         192
        .size:           4
        .value_kind:     by_value
      - .offset:         200
        .size:           8
        .value_kind:     by_value
      - .offset:         208
        .size:           4
        .value_kind:     hidden_block_count_x
      - .offset:         212
        .size:           4
        .value_kind:     hidden_block_count_y
      - .offset:         216
        .size:           4
        .value_kind:     hidden_block_count_z
      - .offset:         220
        .size:           2
        .value_kind:     hidden_group_size_x
      - .offset:         222
        .size:           2
        .value_kind:     hidden_group_size_y
      - .offset:         224
        .size:           2
        .value_kind:     hidden_group_size_z
      - .offset:         226
        .size:           2
        .value_kind:     hidden_remainder_x
      - .offset:         228
        .size:           2
        .value_kind:     hidden_remainder_y
      - .offset:         230
        .size:           2
        .value_kind:     hidden_remainder_z
      - .offset:         248
        .size:           8
        .value_kind:     hidden_global_offset_x
      - .offset:         256
        .size:           8
        .value_kind:     hidden_global_offset_y
      - .offset:         264
        .size:           8
        .value_kind:     hidden_global_offset_z
      - .offset:         272
        .size:           2
        .value_kind:     hidden_grid_dims
    .group_segment_fixed_size: 13312
    .kernarg_segment_align: 8
    .kernarg_segment_size: 464
    .language:       OpenCL C
    .language_version:
      - 2
      - 0
    .max_flat_workgroup_size: 256
    .name:           _ZL15flash_attn_tileILi192ELi128ELi1ELi8ELb0EEvPKcS1_S1_S1_S1_PKiPfP15HIP_vector_typeIfLj2EEffffjfiS5_IjLj3EEiiiiiiiiiiiliiliiiiil
    .private_segment_fixed_size: 0
    .sgpr_count:     43
    .sgpr_spill_count: 0
    .symbol:         _ZL15flash_attn_tileILi192ELi128ELi1ELi8ELb0EEvPKcS1_S1_S1_S1_PKiPfP15HIP_vector_typeIfLj2EEffffjfiS5_IjLj3EEiiiiiiiiiiiliiliiiiil.kd
    .uniform_work_group_size: 1
    .uses_dynamic_stack: false
    .vgpr_count:     66
    .vgpr_spill_count: 0
    .wavefront_size: 64
  - .args:
      - .address_space:  global
        .offset:         0
        .size:           8
        .value_kind:     global_buffer
      - .address_space:  global
        .offset:         8
        .size:           8
        .value_kind:     global_buffer
      - .offset:         16
        .size:           4
        .value_kind:     by_value
      - .offset:         20
        .size:           4
        .value_kind:     by_value
      - .offset:         24
        .size:           4
        .value_kind:     by_value
      - .offset:         28
        .size:           4
        .value_kind:     by_value
      - .offset:         32
        .size:           4
        .value_kind:     by_value
      - .offset:         36
        .size:           4
        .value_kind:     by_value
      - .offset:         40
        .size:           12
        .value_kind:     by_value
      - .offset:         52
        .size:           12
        .value_kind:     by_value
      - .offset:         64
        .size:           12
        .value_kind:     by_value
    .group_segment_fixed_size: 0
    .kernarg_segment_align: 8
    .kernarg_segment_size: 76
    .language:       OpenCL C
    .language_version:
      - 2
      - 0
    .max_flat_workgroup_size: 128
    .name:           _ZL33flash_attn_stream_k_fixup_uniformILi128ELi1ELi8EEvPfPK15HIP_vector_typeIfLj2EEiiiiiiS1_IjLj3EES5_S5_
    .private_segment_fixed_size: 0
    .sgpr_count:     24
    .sgpr_spill_count: 0
    .symbol:         _ZL33flash_attn_stream_k_fixup_uniformILi128ELi1ELi8EEvPfPK15HIP_vector_typeIfLj2EEiiiiiiS1_IjLj3EES5_S5_.kd
    .uniform_work_group_size: 1
    .uses_dynamic_stack: false
    .vgpr_count:     17
    .vgpr_spill_count: 0
    .wavefront_size: 64
  - .args:
      - .address_space:  global
        .offset:         0
        .size:           8
        .value_kind:     global_buffer
      - .address_space:  global
        .offset:         8
        .size:           8
        .value_kind:     global_buffer
      - .offset:         16
        .size:           4
        .value_kind:     by_value
      - .offset:         20
        .size:           4
        .value_kind:     by_value
      - .offset:         24
        .size:           4
        .value_kind:     by_value
      - .offset:         28
        .size:           4
        .value_kind:     by_value
      - .offset:         32
        .size:           12
        .value_kind:     by_value
      - .offset:         44
        .size:           12
        .value_kind:     by_value
      - .offset:         56
        .size:           12
        .value_kind:     by_value
      - .offset:         68
        .size:           12
        .value_kind:     by_value
      - .offset:         80
        .size:           4
        .value_kind:     hidden_block_count_x
      - .offset:         84
        .size:           4
        .value_kind:     hidden_block_count_y
      - .offset:         88
        .size:           4
        .value_kind:     hidden_block_count_z
      - .offset:         92
        .size:           2
        .value_kind:     hidden_group_size_x
      - .offset:         94
        .size:           2
        .value_kind:     hidden_group_size_y
      - .offset:         96
        .size:           2
        .value_kind:     hidden_group_size_z
      - .offset:         98
        .size:           2
        .value_kind:     hidden_remainder_x
      - .offset:         100
        .size:           2
        .value_kind:     hidden_remainder_y
      - .offset:         102
        .size:           2
        .value_kind:     hidden_remainder_z
      - .offset:         120
        .size:           8
        .value_kind:     hidden_global_offset_x
      - .offset:         128
        .size:           8
        .value_kind:     hidden_global_offset_y
      - .offset:         136
        .size:           8
        .value_kind:     hidden_global_offset_z
      - .offset:         144
        .size:           2
        .value_kind:     hidden_grid_dims
    .group_segment_fixed_size: 0
    .kernarg_segment_align: 8
    .kernarg_segment_size: 336
    .language:       OpenCL C
    .language_version:
      - 2
      - 0
    .max_flat_workgroup_size: 128
    .name:           _ZL33flash_attn_stream_k_fixup_generalILi128ELi1ELi8EEvPfPK15HIP_vector_typeIfLj2EEiiiiS1_IjLj3EES5_S5_S5_
    .private_segment_fixed_size: 0
    .sgpr_count:     41
    .sgpr_spill_count: 0
    .symbol:         _ZL33flash_attn_stream_k_fixup_generalILi128ELi1ELi8EEvPfPK15HIP_vector_typeIfLj2EEiiiiS1_IjLj3EES5_S5_S5_.kd
    .uniform_work_group_size: 1
    .uses_dynamic_stack: false
    .vgpr_count:     18
    .vgpr_spill_count: 0
    .wavefront_size: 64
  - .args:
      - .address_space:  global
        .offset:         0
        .size:           8
        .value_kind:     global_buffer
      - .address_space:  global
        .offset:         8
        .size:           8
        .value_kind:     global_buffer
      - .address_space:  global
        .offset:         16
        .size:           8
        .value_kind:     global_buffer
      - .address_space:  global
        .offset:         24
        .size:           8
        .value_kind:     global_buffer
      - .address_space:  global
        .offset:         32
        .size:           8
        .value_kind:     global_buffer
      - .address_space:  global
        .offset:         40
        .size:           8
        .value_kind:     global_buffer
      - .address_space:  global
        .offset:         48
        .size:           8
        .value_kind:     global_buffer
      - .address_space:  global
        .offset:         56
        .size:           8
        .value_kind:     global_buffer
      - .offset:         64
        .size:           4
        .value_kind:     by_value
      - .offset:         68
        .size:           4
        .value_kind:     by_value
      - .offset:         72
        .size:           4
        .value_kind:     by_value
      - .offset:         76
        .size:           4
        .value_kind:     by_value
      - .offset:         80
        .size:           4
        .value_kind:     by_value
      - .offset:         84
        .size:           4
        .value_kind:     by_value
      - .offset:         88
        .size:           4
        .value_kind:     by_value
      - .offset:         92
        .size:           12
        .value_kind:     by_value
      - .offset:         104
        .size:           4
        .value_kind:     by_value
      - .offset:         108
        .size:           4
        .value_kind:     by_value
      - .offset:         112
        .size:           4
        .value_kind:     by_value
      - .offset:         116
        .size:           4
        .value_kind:     by_value
      - .offset:         120
        .size:           4
        .value_kind:     by_value
      - .offset:         124
        .size:           4
        .value_kind:     by_value
      - .offset:         128
        .size:           4
        .value_kind:     by_value
      - .offset:         132
        .size:           4
        .value_kind:     by_value
      - .offset:         136
        .size:           4
        .value_kind:     by_value
      - .offset:         140
        .size:           4
        .value_kind:     by_value
      - .offset:         144
        .size:           4
        .value_kind:     by_value
      - .offset:         152
        .size:           8
        .value_kind:     by_value
      - .offset:         160
        .size:           4
        .value_kind:     by_value
      - .offset:         164
        .size:           4
        .value_kind:     by_value
      - .offset:         168
        .size:           8
        .value_kind:     by_value
      - .offset:         176
        .size:           4
        .value_kind:     by_value
      - .offset:         180
        .size:           4
        .value_kind:     by_value
      - .offset:         184
        .size:           4
        .value_kind:     by_value
      - .offset:         188
        .size:           4
        .value_kind:     by_value
      - .offset:         192
        .size:           4
        .value_kind:     by_value
      - .offset:         200
        .size:           8
        .value_kind:     by_value
      - .offset:         208
        .size:           4
        .value_kind:     hidden_block_count_x
      - .offset:         212
        .size:           4
        .value_kind:     hidden_block_count_y
      - .offset:         216
        .size:           4
        .value_kind:     hidden_block_count_z
      - .offset:         220
        .size:           2
        .value_kind:     hidden_group_size_x
      - .offset:         222
        .size:           2
        .value_kind:     hidden_group_size_y
      - .offset:         224
        .size:           2
        .value_kind:     hidden_group_size_z
      - .offset:         226
        .size:           2
        .value_kind:     hidden_remainder_x
      - .offset:         228
        .size:           2
        .value_kind:     hidden_remainder_y
      - .offset:         230
        .size:           2
        .value_kind:     hidden_remainder_z
      - .offset:         248
        .size:           8
        .value_kind:     hidden_global_offset_x
      - .offset:         256
        .size:           8
        .value_kind:     hidden_global_offset_y
      - .offset:         264
        .size:           8
        .value_kind:     hidden_global_offset_z
      - .offset:         272
        .size:           2
        .value_kind:     hidden_grid_dims
    .group_segment_fixed_size: 18944
    .kernarg_segment_align: 8
    .kernarg_segment_size: 464
    .language:       OpenCL C
    .language_version:
      - 2
      - 0
    .max_flat_workgroup_size: 256
    .name:           _ZL15flash_attn_tileILi192ELi128ELi2ELi16ELb1EEvPKcS1_S1_S1_S1_PKiPfP15HIP_vector_typeIfLj2EEffffjfiS5_IjLj3EEiiiiiiiiiiiliiliiiiil
    .private_segment_fixed_size: 0
    .sgpr_count:     48
    .sgpr_spill_count: 0
    .symbol:         _ZL15flash_attn_tileILi192ELi128ELi2ELi16ELb1EEvPKcS1_S1_S1_S1_PKiPfP15HIP_vector_typeIfLj2EEffffjfiS5_IjLj3EEiiiiiiiiiiiliiliiiiil.kd
    .uniform_work_group_size: 1
    .uses_dynamic_stack: false
    .vgpr_count:     81
    .vgpr_spill_count: 0
    .wavefront_size: 64
  - .args:
      - .address_space:  global
        .offset:         0
        .size:           8
        .value_kind:     global_buffer
      - .address_space:  global
        .offset:         8
        .size:           8
        .value_kind:     global_buffer
      - .address_space:  global
        .offset:         16
        .size:           8
        .value_kind:     global_buffer
      - .address_space:  global
        .offset:         24
        .size:           8
        .value_kind:     global_buffer
      - .address_space:  global
        .offset:         32
        .size:           8
        .value_kind:     global_buffer
      - .address_space:  global
        .offset:         40
        .size:           8
        .value_kind:     global_buffer
      - .address_space:  global
        .offset:         48
        .size:           8
        .value_kind:     global_buffer
      - .address_space:  global
        .offset:         56
        .size:           8
        .value_kind:     global_buffer
      - .offset:         64
        .size:           4
        .value_kind:     by_value
      - .offset:         68
        .size:           4
        .value_kind:     by_value
      - .offset:         72
        .size:           4
        .value_kind:     by_value
      - .offset:         76
        .size:           4
        .value_kind:     by_value
      - .offset:         80
        .size:           4
        .value_kind:     by_value
      - .offset:         84
        .size:           4
        .value_kind:     by_value
      - .offset:         88
        .size:           4
        .value_kind:     by_value
      - .offset:         92
        .size:           12
        .value_kind:     by_value
      - .offset:         104
        .size:           4
        .value_kind:     by_value
      - .offset:         108
        .size:           4
        .value_kind:     by_value
      - .offset:         112
        .size:           4
        .value_kind:     by_value
      - .offset:         116
        .size:           4
        .value_kind:     by_value
      - .offset:         120
        .size:           4
        .value_kind:     by_value
      - .offset:         124
        .size:           4
        .value_kind:     by_value
      - .offset:         128
        .size:           4
        .value_kind:     by_value
      - .offset:         132
        .size:           4
        .value_kind:     by_value
      - .offset:         136
        .size:           4
        .value_kind:     by_value
      - .offset:         140
        .size:           4
        .value_kind:     by_value
      - .offset:         144
        .size:           4
        .value_kind:     by_value
      - .offset:         152
        .size:           8
        .value_kind:     by_value
      - .offset:         160
        .size:           4
        .value_kind:     by_value
      - .offset:         164
        .size:           4
        .value_kind:     by_value
      - .offset:         168
        .size:           8
        .value_kind:     by_value
      - .offset:         176
        .size:           4
        .value_kind:     by_value
      - .offset:         180
        .size:           4
        .value_kind:     by_value
      - .offset:         184
        .size:           4
        .value_kind:     by_value
      - .offset:         188
        .size:           4
        .value_kind:     by_value
      - .offset:         192
        .size:           4
        .value_kind:     by_value
      - .offset:         200
        .size:           8
        .value_kind:     by_value
      - .offset:         208
        .size:           4
        .value_kind:     hidden_block_count_x
      - .offset:         212
        .size:           4
        .value_kind:     hidden_block_count_y
      - .offset:         216
        .size:           4
        .value_kind:     hidden_block_count_z
      - .offset:         220
        .size:           2
        .value_kind:     hidden_group_size_x
      - .offset:         222
        .size:           2
        .value_kind:     hidden_group_size_y
      - .offset:         224
        .size:           2
        .value_kind:     hidden_group_size_z
      - .offset:         226
        .size:           2
        .value_kind:     hidden_remainder_x
      - .offset:         228
        .size:           2
        .value_kind:     hidden_remainder_y
      - .offset:         230
        .size:           2
        .value_kind:     hidden_remainder_z
      - .offset:         248
        .size:           8
        .value_kind:     hidden_global_offset_x
      - .offset:         256
        .size:           8
        .value_kind:     hidden_global_offset_y
      - .offset:         264
        .size:           8
        .value_kind:     hidden_global_offset_z
      - .offset:         272
        .size:           2
        .value_kind:     hidden_grid_dims
    .group_segment_fixed_size: 11776
    .kernarg_segment_align: 8
    .kernarg_segment_size: 464
    .language:       OpenCL C
    .language_version:
      - 2
      - 0
    .max_flat_workgroup_size: 256
    .name:           _ZL15flash_attn_tileILi192ELi128ELi1ELi16ELb1EEvPKcS1_S1_S1_S1_PKiPfP15HIP_vector_typeIfLj2EEffffjfiS5_IjLj3EEiiiiiiiiiiiliiliiiiil
    .private_segment_fixed_size: 0
    .sgpr_count:     48
    .sgpr_spill_count: 0
    .symbol:         _ZL15flash_attn_tileILi192ELi128ELi1ELi16ELb1EEvPKcS1_S1_S1_S1_PKiPfP15HIP_vector_typeIfLj2EEffffjfiS5_IjLj3EEiiiiiiiiiiiliiliiiiil.kd
    .uniform_work_group_size: 1
    .uses_dynamic_stack: false
    .vgpr_count:     60
    .vgpr_spill_count: 0
    .wavefront_size: 64
  - .args:
      - .address_space:  global
        .offset:         0
        .size:           8
        .value_kind:     global_buffer
      - .address_space:  global
        .offset:         8
        .size:           8
        .value_kind:     global_buffer
      - .address_space:  global
        .offset:         16
        .size:           8
        .value_kind:     global_buffer
      - .address_space:  global
        .offset:         24
        .size:           8
        .value_kind:     global_buffer
      - .address_space:  global
        .offset:         32
        .size:           8
        .value_kind:     global_buffer
      - .address_space:  global
        .offset:         40
        .size:           8
        .value_kind:     global_buffer
      - .address_space:  global
        .offset:         48
        .size:           8
        .value_kind:     global_buffer
      - .address_space:  global
        .offset:         56
        .size:           8
        .value_kind:     global_buffer
      - .offset:         64
        .size:           4
        .value_kind:     by_value
      - .offset:         68
        .size:           4
        .value_kind:     by_value
      - .offset:         72
        .size:           4
        .value_kind:     by_value
      - .offset:         76
        .size:           4
        .value_kind:     by_value
      - .offset:         80
        .size:           4
        .value_kind:     by_value
      - .offset:         84
        .size:           4
        .value_kind:     by_value
      - .offset:         88
        .size:           4
        .value_kind:     by_value
      - .offset:         92
        .size:           12
        .value_kind:     by_value
      - .offset:         104
        .size:           4
        .value_kind:     by_value
      - .offset:         108
        .size:           4
        .value_kind:     by_value
      - .offset:         112
        .size:           4
        .value_kind:     by_value
      - .offset:         116
        .size:           4
        .value_kind:     by_value
      - .offset:         120
        .size:           4
        .value_kind:     by_value
      - .offset:         124
        .size:           4
        .value_kind:     by_value
      - .offset:         128
        .size:           4
        .value_kind:     by_value
      - .offset:         132
        .size:           4
        .value_kind:     by_value
      - .offset:         136
        .size:           4
        .value_kind:     by_value
      - .offset:         140
        .size:           4
        .value_kind:     by_value
      - .offset:         144
        .size:           4
        .value_kind:     by_value
      - .offset:         152
        .size:           8
        .value_kind:     by_value
      - .offset:         160
        .size:           4
        .value_kind:     by_value
      - .offset:         164
        .size:           4
        .value_kind:     by_value
      - .offset:         168
        .size:           8
        .value_kind:     by_value
      - .offset:         176
        .size:           4
        .value_kind:     by_value
      - .offset:         180
        .size:           4
        .value_kind:     by_value
      - .offset:         184
        .size:           4
        .value_kind:     by_value
      - .offset:         188
        .size:           4
        .value_kind:     by_value
      - .offset:         192
        .size:           4
        .value_kind:     by_value
      - .offset:         200
        .size:           8
        .value_kind:     by_value
      - .offset:         208
        .size:           4
        .value_kind:     hidden_block_count_x
      - .offset:         212
        .size:           4
        .value_kind:     hidden_block_count_y
      - .offset:         216
        .size:           4
        .value_kind:     hidden_block_count_z
      - .offset:         220
        .size:           2
        .value_kind:     hidden_group_size_x
      - .offset:         222
        .size:           2
        .value_kind:     hidden_group_size_y
      - .offset:         224
        .size:           2
        .value_kind:     hidden_group_size_z
      - .offset:         226
        .size:           2
        .value_kind:     hidden_remainder_x
      - .offset:         228
        .size:           2
        .value_kind:     hidden_remainder_y
      - .offset:         230
        .size:           2
        .value_kind:     hidden_remainder_z
      - .offset:         248
        .size:           8
        .value_kind:     hidden_global_offset_x
      - .offset:         256
        .size:           8
        .value_kind:     hidden_global_offset_y
      - .offset:         264
        .size:           8
        .value_kind:     hidden_global_offset_z
      - .offset:         272
        .size:           2
        .value_kind:     hidden_grid_dims
    .group_segment_fixed_size: 18944
    .kernarg_segment_align: 8
    .kernarg_segment_size: 464
    .language:       OpenCL C
    .language_version:
      - 2
      - 0
    .max_flat_workgroup_size: 256
    .name:           _ZL15flash_attn_tileILi192ELi128ELi4ELi8ELb1EEvPKcS1_S1_S1_S1_PKiPfP15HIP_vector_typeIfLj2EEffffjfiS5_IjLj3EEiiiiiiiiiiiliiliiiiil
    .private_segment_fixed_size: 0
    .sgpr_count:     48
    .sgpr_spill_count: 0
    .symbol:         _ZL15flash_attn_tileILi192ELi128ELi4ELi8ELb1EEvPKcS1_S1_S1_S1_PKiPfP15HIP_vector_typeIfLj2EEffffjfiS5_IjLj3EEiiiiiiiiiiiliiliiiiil.kd
    .uniform_work_group_size: 1
    .uses_dynamic_stack: false
    .vgpr_count:     81
    .vgpr_spill_count: 0
    .wavefront_size: 64
  - .args:
      - .address_space:  global
        .offset:         0
        .size:           8
        .value_kind:     global_buffer
      - .address_space:  global
        .offset:         8
        .size:           8
        .value_kind:     global_buffer
      - .address_space:  global
        .offset:         16
        .size:           8
        .value_kind:     global_buffer
      - .address_space:  global
        .offset:         24
        .size:           8
        .value_kind:     global_buffer
      - .address_space:  global
        .offset:         32
        .size:           8
        .value_kind:     global_buffer
      - .address_space:  global
        .offset:         40
        .size:           8
        .value_kind:     global_buffer
      - .address_space:  global
        .offset:         48
        .size:           8
        .value_kind:     global_buffer
      - .address_space:  global
        .offset:         56
        .size:           8
        .value_kind:     global_buffer
      - .offset:         64
        .size:           4
        .value_kind:     by_value
      - .offset:         68
        .size:           4
        .value_kind:     by_value
      - .offset:         72
        .size:           4
        .value_kind:     by_value
      - .offset:         76
        .size:           4
        .value_kind:     by_value
      - .offset:         80
        .size:           4
        .value_kind:     by_value
      - .offset:         84
        .size:           4
        .value_kind:     by_value
      - .offset:         88
        .size:           4
        .value_kind:     by_value
      - .offset:         92
        .size:           12
        .value_kind:     by_value
      - .offset:         104
        .size:           4
        .value_kind:     by_value
      - .offset:         108
        .size:           4
        .value_kind:     by_value
      - .offset:         112
        .size:           4
        .value_kind:     by_value
      - .offset:         116
        .size:           4
        .value_kind:     by_value
      - .offset:         120
        .size:           4
        .value_kind:     by_value
      - .offset:         124
        .size:           4
        .value_kind:     by_value
      - .offset:         128
        .size:           4
        .value_kind:     by_value
      - .offset:         132
        .size:           4
        .value_kind:     by_value
      - .offset:         136
        .size:           4
        .value_kind:     by_value
      - .offset:         140
        .size:           4
        .value_kind:     by_value
      - .offset:         144
        .size:           4
        .value_kind:     by_value
      - .offset:         152
        .size:           8
        .value_kind:     by_value
      - .offset:         160
        .size:           4
        .value_kind:     by_value
      - .offset:         164
        .size:           4
        .value_kind:     by_value
      - .offset:         168
        .size:           8
        .value_kind:     by_value
      - .offset:         176
        .size:           4
        .value_kind:     by_value
      - .offset:         180
        .size:           4
        .value_kind:     by_value
      - .offset:         184
        .size:           4
        .value_kind:     by_value
      - .offset:         188
        .size:           4
        .value_kind:     by_value
      - .offset:         192
        .size:           4
        .value_kind:     by_value
      - .offset:         200
        .size:           8
        .value_kind:     by_value
      - .offset:         208
        .size:           4
        .value_kind:     hidden_block_count_x
      - .offset:         212
        .size:           4
        .value_kind:     hidden_block_count_y
      - .offset:         216
        .size:           4
        .value_kind:     hidden_block_count_z
      - .offset:         220
        .size:           2
        .value_kind:     hidden_group_size_x
      - .offset:         222
        .size:           2
        .value_kind:     hidden_group_size_y
      - .offset:         224
        .size:           2
        .value_kind:     hidden_group_size_z
      - .offset:         226
        .size:           2
        .value_kind:     hidden_remainder_x
      - .offset:         228
        .size:           2
        .value_kind:     hidden_remainder_y
      - .offset:         230
        .size:           2
        .value_kind:     hidden_remainder_z
      - .offset:         248
        .size:           8
        .value_kind:     hidden_global_offset_x
      - .offset:         256
        .size:           8
        .value_kind:     hidden_global_offset_y
      - .offset:         264
        .size:           8
        .value_kind:     hidden_global_offset_z
      - .offset:         272
        .size:           2
        .value_kind:     hidden_grid_dims
    .group_segment_fixed_size: 11776
    .kernarg_segment_align: 8
    .kernarg_segment_size: 464
    .language:       OpenCL C
    .language_version:
      - 2
      - 0
    .max_flat_workgroup_size: 256
    .name:           _ZL15flash_attn_tileILi192ELi128ELi2ELi8ELb1EEvPKcS1_S1_S1_S1_PKiPfP15HIP_vector_typeIfLj2EEffffjfiS5_IjLj3EEiiiiiiiiiiiliiliiiiil
    .private_segment_fixed_size: 0
    .sgpr_count:     48
    .sgpr_spill_count: 0
    .symbol:         _ZL15flash_attn_tileILi192ELi128ELi2ELi8ELb1EEvPKcS1_S1_S1_S1_PKiPfP15HIP_vector_typeIfLj2EEffffjfiS5_IjLj3EEiiiiiiiiiiiliiliiiiil.kd
    .uniform_work_group_size: 1
    .uses_dynamic_stack: false
    .vgpr_count:     60
    .vgpr_spill_count: 0
    .wavefront_size: 64
  - .args:
      - .address_space:  global
        .offset:         0
        .size:           8
        .value_kind:     global_buffer
      - .address_space:  global
        .offset:         8
        .size:           8
        .value_kind:     global_buffer
      - .address_space:  global
        .offset:         16
        .size:           8
        .value_kind:     global_buffer
      - .address_space:  global
        .offset:         24
        .size:           8
        .value_kind:     global_buffer
      - .address_space:  global
        .offset:         32
        .size:           8
        .value_kind:     global_buffer
      - .address_space:  global
        .offset:         40
        .size:           8
        .value_kind:     global_buffer
      - .address_space:  global
        .offset:         48
        .size:           8
        .value_kind:     global_buffer
      - .address_space:  global
        .offset:         56
        .size:           8
        .value_kind:     global_buffer
      - .offset:         64
        .size:           4
        .value_kind:     by_value
      - .offset:         68
        .size:           4
        .value_kind:     by_value
      - .offset:         72
        .size:           4
        .value_kind:     by_value
      - .offset:         76
        .size:           4
        .value_kind:     by_value
      - .offset:         80
        .size:           4
        .value_kind:     by_value
      - .offset:         84
        .size:           4
        .value_kind:     by_value
      - .offset:         88
        .size:           4
        .value_kind:     by_value
      - .offset:         92
        .size:           12
        .value_kind:     by_value
      - .offset:         104
        .size:           4
        .value_kind:     by_value
      - .offset:         108
        .size:           4
        .value_kind:     by_value
      - .offset:         112
        .size:           4
        .value_kind:     by_value
      - .offset:         116
        .size:           4
        .value_kind:     by_value
      - .offset:         120
        .size:           4
        .value_kind:     by_value
      - .offset:         124
        .size:           4
        .value_kind:     by_value
      - .offset:         128
        .size:           4
        .value_kind:     by_value
      - .offset:         132
        .size:           4
        .value_kind:     by_value
      - .offset:         136
        .size:           4
        .value_kind:     by_value
      - .offset:         140
        .size:           4
        .value_kind:     by_value
      - .offset:         144
        .size:           4
        .value_kind:     by_value
      - .offset:         152
        .size:           8
        .value_kind:     by_value
      - .offset:         160
        .size:           4
        .value_kind:     by_value
      - .offset:         164
        .size:           4
        .value_kind:     by_value
      - .offset:         168
        .size:           8
        .value_kind:     by_value
      - .offset:         176
        .size:           4
        .value_kind:     by_value
      - .offset:         180
        .size:           4
        .value_kind:     by_value
      - .offset:         184
        .size:           4
        .value_kind:     by_value
      - .offset:         188
        .size:           4
        .value_kind:     by_value
      - .offset:         192
        .size:           4
        .value_kind:     by_value
      - .offset:         200
        .size:           8
        .value_kind:     by_value
      - .offset:         208
        .size:           4
        .value_kind:     hidden_block_count_x
      - .offset:         212
        .size:           4
        .value_kind:     hidden_block_count_y
      - .offset:         216
        .size:           4
        .value_kind:     hidden_block_count_z
      - .offset:         220
        .size:           2
        .value_kind:     hidden_group_size_x
      - .offset:         222
        .size:           2
        .value_kind:     hidden_group_size_y
      - .offset:         224
        .size:           2
        .value_kind:     hidden_group_size_z
      - .offset:         226
        .size:           2
        .value_kind:     hidden_remainder_x
      - .offset:         228
        .size:           2
        .value_kind:     hidden_remainder_y
      - .offset:         230
        .size:           2
        .value_kind:     hidden_remainder_z
      - .offset:         248
        .size:           8
        .value_kind:     hidden_global_offset_x
      - .offset:         256
        .size:           8
        .value_kind:     hidden_global_offset_y
      - .offset:         264
        .size:           8
        .value_kind:     hidden_global_offset_z
      - .offset:         272
        .size:           2
        .value_kind:     hidden_grid_dims
    .group_segment_fixed_size: 13312
    .kernarg_segment_align: 8
    .kernarg_segment_size: 464
    .language:       OpenCL C
    .language_version:
      - 2
      - 0
    .max_flat_workgroup_size: 256
    .name:           _ZL15flash_attn_tileILi192ELi128ELi1ELi8ELb1EEvPKcS1_S1_S1_S1_PKiPfP15HIP_vector_typeIfLj2EEffffjfiS5_IjLj3EEiiiiiiiiiiiliiliiiiil
    .private_segment_fixed_size: 0
    .sgpr_count:     44
    .sgpr_spill_count: 0
    .symbol:         _ZL15flash_attn_tileILi192ELi128ELi1ELi8ELb1EEvPKcS1_S1_S1_S1_PKiPfP15HIP_vector_typeIfLj2EEffffjfiS5_IjLj3EEiiiiiiiiiiiliiliiiiil.kd
    .uniform_work_group_size: 1
    .uses_dynamic_stack: false
    .vgpr_count:     64
    .vgpr_spill_count: 0
    .wavefront_size: 64
amdhsa.target:   amdgcn-amd-amdhsa--gfx906
amdhsa.version:
  - 1
  - 2
...

	.end_amdgpu_metadata
